;; amdgpu-corpus repo=ROCm/rocFFT kind=compiled arch=gfx906 opt=O3
	.text
	.amdgcn_target "amdgcn-amd-amdhsa--gfx906"
	.amdhsa_code_object_version 6
	.protected	bluestein_single_fwd_len3645_dim1_half_op_CI_CI ; -- Begin function bluestein_single_fwd_len3645_dim1_half_op_CI_CI
	.globl	bluestein_single_fwd_len3645_dim1_half_op_CI_CI
	.p2align	8
	.type	bluestein_single_fwd_len3645_dim1_half_op_CI_CI,@function
bluestein_single_fwd_len3645_dim1_half_op_CI_CI: ; @bluestein_single_fwd_len3645_dim1_half_op_CI_CI
; %bb.0:
	s_load_dwordx4 s[16:19], s[4:5], 0x28
	v_mul_u32_u24_e32 v3, 0x10e, v0
	v_add_u32_sdwa v1, s6, v3 dst_sel:DWORD dst_unused:UNUSED_PAD src0_sel:DWORD src1_sel:WORD_1
	v_mov_b32_e32 v2, 0
	s_waitcnt lgkmcnt(0)
	v_cmp_gt_u64_e32 vcc, s[16:17], v[1:2]
	s_and_saveexec_b64 s[0:1], vcc
	s_cbranch_execz .LBB0_2
; %bb.1:
	s_load_dwordx4 s[8:11], s[4:5], 0x18
	s_load_dwordx4 s[0:3], s[4:5], 0x0
	s_movk_i32 s16, 0xf3
	v_mul_lo_u16_sdwa v2, v3, s16 dst_sel:DWORD dst_unused:UNUSED_PAD src0_sel:WORD_1 src1_sel:DWORD
	v_sub_u16_e32 v81, v0, v2
	s_waitcnt lgkmcnt(0)
	s_load_dwordx4 s[12:15], s[8:9], 0x0
	v_lshlrev_b32_e32 v64, 2, v81
	s_movk_i32 s17, 0x2000
	v_mov_b32_e32 v67, 0xffffd63c
	v_add_u32_e32 v78, 0xf00, v64
	s_waitcnt lgkmcnt(0)
	v_mad_u64_u32 v[2:3], s[6:7], s14, v1, 0
	v_mad_u64_u32 v[4:5], s[6:7], s12, v81, 0
	v_mov_b32_e32 v0, v3
	s_movk_i32 s14, 0x1000
	v_mov_b32_e32 v3, v5
	v_mad_u64_u32 v[5:6], s[6:7], s15, v1, v[0:1]
	v_mad_u64_u32 v[6:7], s[6:7], s13, v81, v[3:4]
	v_mov_b32_e32 v3, v5
	v_lshlrev_b64 v[2:3], 2, v[2:3]
	v_mov_b32_e32 v0, s19
	v_mov_b32_e32 v5, v6
	v_add_co_u32_e32 v6, vcc, s18, v2
	v_addc_co_u32_e32 v0, vcc, v0, v3, vcc
	v_lshlrev_b64 v[2:3], 2, v[4:5]
	s_mul_i32 s6, s13, 0xb64
	v_add_co_u32_e32 v2, vcc, v6, v2
	s_mul_hi_u32 s7, s12, 0xb64
	v_addc_co_u32_e32 v3, vcc, v0, v3, vcc
	s_add_i32 s7, s7, s6
	s_mul_i32 s15, s12, 0xb64
	global_load_dword v12, v[2:3], off
	global_load_dword v0, v64, s[0:1]
	v_mov_b32_e32 v4, s7
	v_add_co_u32_e32 v2, vcc, s15, v2
	v_addc_co_u32_e32 v3, vcc, v3, v4, vcc
	global_load_dword v13, v[2:3], off
	global_load_dword v80, v64, s[0:1] offset:2916
	v_mov_b32_e32 v5, s7
	v_add_co_u32_e32 v2, vcc, s15, v2
	v_addc_co_u32_e32 v3, vcc, v3, v5, vcc
	v_mov_b32_e32 v4, s1
	v_add_co_u32_e32 v87, vcc, s0, v64
	v_addc_co_u32_e32 v88, vcc, 0, v4, vcc
	v_add_co_u32_e32 v4, vcc, s14, v87
	s_load_dwordx4 s[8:11], s[10:11], 0x0
	global_load_dword v75, v64, s[0:1] offset:972
	global_load_dword v73, v64, s[0:1] offset:3888
	;; [unrolled: 1-line block ×3, first 2 shown]
	global_load_dword v14, v[2:3], off
	v_addc_co_u32_e32 v5, vcc, 0, v88, vcc
	global_load_dword v82, v[4:5], off offset:1736
	v_add_co_u32_e32 v6, vcc, s17, v87
	v_addc_co_u32_e32 v7, vcc, 0, v88, vcc
	v_mov_b32_e32 v8, s7
	v_add_co_u32_e32 v2, vcc, s15, v2
	v_addc_co_u32_e32 v3, vcc, v3, v8, vcc
	v_mov_b32_e32 v9, s7
	v_add_co_u32_e32 v8, vcc, s15, v2
	global_load_dword v79, v[6:7], off offset:556
	global_load_dword v77, v[6:7], off offset:3472
	v_addc_co_u32_e32 v9, vcc, v3, v9, vcc
	global_load_dword v16, v[2:3], off
	global_load_dword v17, v[8:9], off
	s_mul_i32 s0, s13, 0xffffd63c
	s_sub_i32 s13, s0, s12
	v_mad_u64_u32 v[10:11], s[0:1], s12, v67, v[8:9]
	v_mov_b32_e32 v15, s7
	s_movk_i32 s0, 0x3000
	v_add_u32_e32 v11, s13, v11
	global_load_dword v8, v[10:11], off
	v_add_co_u32_e32 v2, vcc, s15, v10
	v_addc_co_u32_e32 v3, vcc, v11, v15, vcc
	global_load_dword v9, v[2:3], off
	v_add_co_u32_e32 v2, vcc, s15, v2
	v_mov_b32_e32 v19, s7
	v_mov_b32_e32 v20, s7
	v_add_u32_e32 v95, 0x1a80, v64
	v_add_u32_e32 v76, 0x25e0, v64
	;; [unrolled: 1-line block ×7, first 2 shown]
	s_mov_b32 s6, 0xffff
	v_mov_b32_e32 v117, s3
	s_movk_i32 s18, 0xa2
	s_load_dwordx2 s[4:5], s[4:5], 0x38
	s_waitcnt vmcnt(14)
	v_lshrrev_b32_e32 v10, 16, v12
	s_waitcnt vmcnt(13)
	v_mul_f16_sdwa v11, v0, v12 dst_sel:DWORD dst_unused:UNUSED_PAD src0_sel:WORD_1 src1_sel:DWORD
	v_mul_f16_sdwa v15, v0, v10 dst_sel:DWORD dst_unused:UNUSED_PAD src0_sel:WORD_1 src1_sel:DWORD
	v_fma_f16 v10, v0, v10, -v11
	v_fma_f16 v12, v0, v12, v15
	v_pack_b32_f16 v10, v12, v10
	s_waitcnt vmcnt(12)
	v_lshrrev_b32_e32 v11, 16, v13
	s_waitcnt vmcnt(11)
	v_mul_f16_sdwa v15, v80, v11 dst_sel:DWORD dst_unused:UNUSED_PAD src0_sel:WORD_1 src1_sel:DWORD
	v_mul_f16_sdwa v18, v80, v13 dst_sel:DWORD dst_unused:UNUSED_PAD src0_sel:WORD_1 src1_sel:DWORD
	v_fma_f16 v12, v80, v13, v15
	v_mov_b32_e32 v13, s7
	v_addc_co_u32_e32 v3, vcc, v3, v13, vcc
	global_load_dword v13, v[2:3], off
	global_load_dword v74, v[4:5], off offset:2708
	v_mov_b32_e32 v15, s7
	v_add_co_u32_e32 v2, vcc, s15, v2
	v_addc_co_u32_e32 v3, vcc, v3, v15, vcc
	v_fma_f16 v11, v80, v11, -v18
	global_load_dword v15, v[2:3], off
	global_load_dword v72, v[6:7], off offset:1528
	v_mov_b32_e32 v18, s7
	v_add_co_u32_e32 v2, vcc, s15, v2
	v_addc_co_u32_e32 v3, vcc, v3, v18, vcc
	global_load_dword v18, v[2:3], off
	v_add_co_u32_e32 v32, vcc, s0, v87
	v_mad_u64_u32 v[2:3], s[0:1], s12, v67, v[2:3]
	v_addc_co_u32_e32 v33, vcc, 0, v88, vcc
	global_load_dword v71, v[32:33], off offset:348
	v_add_u32_e32 v3, s13, v3
	v_pack_b32_f16 v11, v12, v11
	global_load_dword v12, v[2:3], off
	v_add_co_u32_e32 v2, vcc, s15, v2
	ds_write_b32 v64, v11 offset:2916
	v_addc_co_u32_e32 v3, vcc, v3, v19, vcc
	global_load_dword v19, v[2:3], off
	global_load_dword v68, v[4:5], off offset:3680
	global_load_dword v70, v[4:5], off offset:764
	v_mov_b32_e32 v5, s7
	v_add_co_u32_e32 v2, vcc, s15, v2
	v_addc_co_u32_e32 v3, vcc, v3, v5, vcc
	global_load_dword v5, v[2:3], off
	v_add_co_u32_e32 v2, vcc, s15, v2
	v_addc_co_u32_e32 v3, vcc, v3, v20, vcc
	global_load_dword v20, v[2:3], off
	global_load_dword v66, v[6:7], off offset:2500
	v_mov_b32_e32 v7, s7
	v_add_co_u32_e32 v2, vcc, s15, v2
	v_addc_co_u32_e32 v3, vcc, v3, v7, vcc
	global_load_dword v7, v[2:3], off
	global_load_dword v65, v[32:33], off offset:1320
	s_waitcnt vmcnt(22)
	v_lshrrev_b32_e32 v11, 16, v14
	s_waitcnt vmcnt(21)
	v_mul_f16_sdwa v4, v82, v11 dst_sel:DWORD dst_unused:UNUSED_PAD src0_sel:WORD_1 src1_sel:DWORD
	v_fma_f16 v4, v82, v14, v4
	v_mul_f16_sdwa v14, v82, v14 dst_sel:DWORD dst_unused:UNUSED_PAD src0_sel:WORD_1 src1_sel:DWORD
	v_fma_f16 v6, v82, v11, -v14
	v_pack_b32_f16 v2, v4, v6
	ds_write_b32 v64, v2 offset:5832
	s_waitcnt vmcnt(18)
	v_lshrrev_b32_e32 v2, 16, v16
	v_mul_f16_sdwa v3, v79, v2 dst_sel:DWORD dst_unused:UNUSED_PAD src0_sel:WORD_1 src1_sel:DWORD
	v_mul_f16_sdwa v4, v79, v16 dst_sel:DWORD dst_unused:UNUSED_PAD src0_sel:WORD_1 src1_sel:DWORD
	v_fma_f16 v3, v79, v16, v3
	v_fma_f16 v2, v79, v2, -v4
	v_pack_b32_f16 v2, v3, v2
	ds_write_b32 v64, v2 offset:8748
	s_waitcnt vmcnt(17)
	v_lshrrev_b32_e32 v2, 16, v17
	v_mul_f16_sdwa v3, v77, v2 dst_sel:DWORD dst_unused:UNUSED_PAD src0_sel:WORD_1 src1_sel:DWORD
	v_mul_f16_sdwa v4, v77, v17 dst_sel:DWORD dst_unused:UNUSED_PAD src0_sel:WORD_1 src1_sel:DWORD
	v_fma_f16 v3, v77, v17, v3
	;; [unrolled: 8-line block ×3, first 2 shown]
	v_fma_f16 v2, v75, v2, -v4
	v_pack_b32_f16 v2, v3, v2
	ds_write2_b32 v64, v10, v2 offset1:243
	s_waitcnt vmcnt(15)
	v_lshrrev_b32_e32 v2, 16, v9
	v_mul_f16_sdwa v3, v73, v2 dst_sel:DWORD dst_unused:UNUSED_PAD src0_sel:WORD_1 src1_sel:DWORD
	v_mul_f16_sdwa v4, v73, v9 dst_sel:DWORD dst_unused:UNUSED_PAD src0_sel:WORD_1 src1_sel:DWORD
	v_fma_f16 v3, v73, v9, v3
	v_fma_f16 v2, v73, v2, -v4
	v_pack_b32_f16 v2, v3, v2
	s_waitcnt vmcnt(14)
	v_lshrrev_b32_e32 v3, 16, v13
	s_waitcnt vmcnt(13)
	v_mul_f16_sdwa v4, v74, v3 dst_sel:DWORD dst_unused:UNUSED_PAD src0_sel:WORD_1 src1_sel:DWORD
	v_mul_f16_sdwa v6, v74, v13 dst_sel:DWORD dst_unused:UNUSED_PAD src0_sel:WORD_1 src1_sel:DWORD
	v_fma_f16 v4, v74, v13, v4
	v_fma_f16 v3, v74, v3, -v6
	v_pack_b32_f16 v3, v4, v3
	s_waitcnt vmcnt(12)
	v_lshrrev_b32_e32 v4, 16, v15
	s_waitcnt vmcnt(11)
	v_mul_f16_sdwa v6, v72, v4 dst_sel:DWORD dst_unused:UNUSED_PAD src0_sel:WORD_1 src1_sel:DWORD
	v_mul_f16_sdwa v8, v72, v15 dst_sel:DWORD dst_unused:UNUSED_PAD src0_sel:WORD_1 src1_sel:DWORD
	v_fma_f16 v6, v72, v15, v6
	v_fma_f16 v4, v72, v4, -v8
	v_pack_b32_f16 v4, v6, v4
	s_waitcnt vmcnt(10)
	v_lshrrev_b32_e32 v6, 16, v18
	s_movk_i32 s12, 0x3b9c
	s_movk_i32 s7, 0x38b4
	;; [unrolled: 1-line block ×3, first 2 shown]
	v_add_co_u32_e32 v55, vcc, s16, v81
	v_addc_co_u32_e64 v42, s[0:1], 0, 0, vcc
	s_waitcnt vmcnt(9)
	v_mul_f16_sdwa v8, v71, v6 dst_sel:DWORD dst_unused:UNUSED_PAD src0_sel:WORD_1 src1_sel:DWORD
	v_mul_f16_sdwa v9, v71, v18 dst_sel:DWORD dst_unused:UNUSED_PAD src0_sel:WORD_1 src1_sel:DWORD
	v_fma_f16 v8, v71, v18, v8
	v_fma_f16 v6, v71, v6, -v9
	v_pack_b32_f16 v6, v8, v6
	s_waitcnt vmcnt(8)
	v_lshrrev_b32_e32 v8, 16, v12
	v_mul_f16_sdwa v9, v69, v8 dst_sel:DWORD dst_unused:UNUSED_PAD src0_sel:WORD_1 src1_sel:DWORD
	v_mul_f16_sdwa v10, v69, v12 dst_sel:DWORD dst_unused:UNUSED_PAD src0_sel:WORD_1 src1_sel:DWORD
	v_fma_f16 v9, v69, v12, v9
	v_fma_f16 v8, v69, v8, -v10
	v_pack_b32_f16 v8, v9, v8
	ds_write_b32 v64, v8 offset:1944
	s_waitcnt vmcnt(7)
	v_lshrrev_b32_e32 v8, 16, v19
	s_waitcnt vmcnt(5)
	v_mul_f16_sdwa v9, v70, v8 dst_sel:DWORD dst_unused:UNUSED_PAD src0_sel:WORD_1 src1_sel:DWORD
	v_mul_f16_sdwa v10, v70, v19 dst_sel:DWORD dst_unused:UNUSED_PAD src0_sel:WORD_1 src1_sel:DWORD
	v_fma_f16 v9, v70, v19, v9
	v_fma_f16 v8, v70, v8, -v10
	v_pack_b32_f16 v8, v9, v8
	ds_write2_b32 v78, v2, v8 offset0:12 offset1:255
	s_waitcnt vmcnt(4)
	v_lshrrev_b32_e32 v2, 16, v5
	v_mul_f16_sdwa v8, v68, v2 dst_sel:DWORD dst_unused:UNUSED_PAD src0_sel:WORD_1 src1_sel:DWORD
	v_fma_f16 v8, v68, v5, v8
	v_mul_f16_sdwa v5, v68, v5 dst_sel:DWORD dst_unused:UNUSED_PAD src0_sel:WORD_1 src1_sel:DWORD
	v_fma_f16 v2, v68, v2, -v5
	v_pack_b32_f16 v2, v8, v2
	ds_write2_b32 v95, v3, v2 offset0:5 offset1:248
	s_waitcnt vmcnt(3)
	v_lshrrev_b32_e32 v2, 16, v20
	s_waitcnt vmcnt(2)
	v_mul_f16_sdwa v3, v66, v2 dst_sel:DWORD dst_unused:UNUSED_PAD src0_sel:WORD_1 src1_sel:DWORD
	v_mul_f16_sdwa v5, v66, v20 dst_sel:DWORD dst_unused:UNUSED_PAD src0_sel:WORD_1 src1_sel:DWORD
	v_fma_f16 v3, v66, v20, v3
	v_fma_f16 v2, v66, v2, -v5
	v_pack_b32_f16 v2, v3, v2
	ds_write2_b32 v76, v4, v2 offset0:6 offset1:249
	s_waitcnt vmcnt(1)
	v_lshrrev_b32_e32 v2, 16, v7
	s_waitcnt vmcnt(0)
	v_mul_f16_sdwa v3, v65, v2 dst_sel:DWORD dst_unused:UNUSED_PAD src0_sel:WORD_1 src1_sel:DWORD
	v_mul_f16_sdwa v4, v65, v7 dst_sel:DWORD dst_unused:UNUSED_PAD src0_sel:WORD_1 src1_sel:DWORD
	v_fma_f16 v3, v65, v7, v3
	v_fma_f16 v2, v65, v2, -v4
	v_pack_b32_f16 v2, v3, v2
	ds_write2_b32 v96, v6, v2 offset0:7 offset1:250
	s_waitcnt lgkmcnt(0)
	s_barrier
	ds_read2_b32 v[2:3], v64 offset1:243
	ds_read2_b32 v[4:5], v78 offset0:12 offset1:255
	ds_read2_b32 v[6:7], v85 offset0:2 offset1:245
	;; [unrolled: 1-line block ×4, first 2 shown]
	v_mul_lo_u16_e32 v12, 5, v81
	v_lshlrev_b32_e32 v89, 2, v12
	s_waitcnt lgkmcnt(2)
	v_pk_add_f16 v15, v4, v7 neg_lo:[0,1] neg_hi:[0,1]
	s_waitcnt lgkmcnt(1)
	v_pk_add_f16 v12, v7, v8
	s_waitcnt lgkmcnt(0)
	v_pk_add_f16 v16, v4, v11 neg_lo:[0,1] neg_hi:[0,1]
	v_pk_fma_f16 v12, v12, 0.5, v3 op_sel_hi:[1,0,1] neg_lo:[1,0,0] neg_hi:[1,0,0]
	v_pk_mul_f16 v13, v16, s12 op_sel_hi:[1,0]
	v_pk_add_f16 v17, v7, v8 neg_lo:[0,1] neg_hi:[0,1]
	v_pk_add_f16 v18, v11, v8 neg_lo:[0,1] neg_hi:[0,1]
	v_pk_mul_f16 v14, v17, s7 op_sel_hi:[1,0]
	v_pk_add_f16 v18, v15, v18
	v_pk_add_f16 v15, v12, v13 op_sel:[0,1] op_sel_hi:[1,0]
	v_pk_add_f16 v12, v12, v13 op_sel:[0,1] op_sel_hi:[1,0] neg_lo:[0,1] neg_hi:[0,1]
	v_pk_add_f16 v19, v15, v14 op_sel:[0,1] op_sel_hi:[1,0]
	v_pk_add_f16 v20, v12, v14 op_sel:[0,1] op_sel_hi:[1,0] neg_lo:[0,1] neg_hi:[0,1]
	ds_read2_b32 v[12:13], v86 offset0:6 offset1:249
	ds_read2_b32 v[14:15], v84 offset0:8 offset1:251
	ds_read_b32 v21, v64 offset:13608
	s_waitcnt lgkmcnt(0)
	s_barrier
	v_pk_add_f16 v24, v13, v10 neg_lo:[0,1] neg_hi:[0,1]
	v_pk_add_f16 v23, v6, v15
	v_pk_fma_f16 v23, v23, 0.5, v2 op_sel_hi:[1,0,1] neg_lo:[1,0,0] neg_hi:[1,0,0]
	v_pk_mul_f16 v25, v24, s12 op_sel_hi:[1,0]
	v_pk_add_f16 v26, v6, v15 neg_lo:[0,1] neg_hi:[0,1]
	v_pk_add_f16 v27, v13, v6 neg_lo:[0,1] neg_hi:[0,1]
	;; [unrolled: 1-line block ×3, first 2 shown]
	v_pk_add_f16 v22, v2, v13
	v_pk_add_f16 v27, v27, v28
	v_pk_add_f16 v28, v23, v25 op_sel:[0,1] op_sel_hi:[1,0]
	v_pk_add_f16 v23, v23, v25 op_sel:[0,1] op_sel_hi:[1,0] neg_lo:[0,1] neg_hi:[0,1]
	v_pk_mul_f16 v25, v26, s7 op_sel_hi:[1,0]
	v_pk_add_f16 v22, v22, v6
	v_pk_add_f16 v28, v28, v25 op_sel:[0,1] op_sel_hi:[1,0]
	v_pk_add_f16 v23, v23, v25 op_sel:[0,1] op_sel_hi:[1,0] neg_lo:[0,1] neg_hi:[0,1]
	v_pk_add_f16 v22, v22, v15
	v_bfi_b32 v25, s6, v28, v23
	v_pk_add_f16 v22, v22, v10
	v_pk_fma_f16 v25, v27, s13, v25 op_sel_hi:[1,0,1]
	ds_write2_b32 v89, v22, v25 offset1:1
	v_pk_add_f16 v22, v7, v4 neg_lo:[0,1] neg_hi:[0,1]
	v_pk_add_f16 v25, v8, v11 neg_lo:[0,1] neg_hi:[0,1]
	v_pk_add_f16 v22, v22, v25
	v_pk_add_f16 v25, v4, v11
	v_pk_fma_f16 v25, v25, 0.5, v3 op_sel_hi:[1,0,1] neg_lo:[1,0,0] neg_hi:[1,0,0]
	v_pk_mul_f16 v17, v17, s12 op_sel_hi:[1,0]
	v_pk_add_f16 v29, v25, v17 op_sel:[0,1] op_sel_hi:[1,0] neg_lo:[0,1] neg_hi:[0,1]
	v_pk_add_f16 v17, v25, v17 op_sel:[0,1] op_sel_hi:[1,0]
	v_pk_mul_f16 v16, v16, s7 op_sel_hi:[1,0]
	v_pk_add_f16 v25, v29, v16 op_sel:[0,1] op_sel_hi:[1,0]
	v_pk_add_f16 v16, v17, v16 op_sel:[0,1] op_sel_hi:[1,0] neg_lo:[0,1] neg_hi:[0,1]
	v_pk_add_f16 v3, v3, v4
	v_bfi_b32 v17, s6, v25, v16
	s_movk_i32 s0, 0x1e6
	v_pk_add_f16 v3, v3, v7
	v_mul_u32_u24_e32 v7, 5, v55
	v_pk_fma_f16 v4, v22, s13, v17 op_sel_hi:[1,0,1]
	v_bfi_b32 v17, s6, v19, v20
	v_bfi_b32 v19, s6, v20, v19
	v_pk_add_f16 v20, v13, v10
	v_add_co_u32_e32 v54, vcc, s0, v81
	v_pk_add_f16 v6, v6, v13 neg_lo:[0,1] neg_hi:[0,1]
	v_lshlrev_b32_e32 v92, 2, v7
	v_pk_add_f16 v7, v15, v10 neg_lo:[0,1] neg_hi:[0,1]
	v_pk_fma_f16 v2, v20, 0.5, v2 op_sel_hi:[1,0,1] neg_lo:[1,0,0] neg_hi:[1,0,0]
	v_pk_add_f16 v3, v3, v8
	v_mul_u32_u24_e32 v8, 5, v54
	v_pk_add_f16 v6, v6, v7
	v_pk_mul_f16 v7, v26, s12 op_sel_hi:[1,0]
	v_lshlrev_b32_e32 v90, 2, v8
	v_pk_add_f16 v8, v2, v7 op_sel:[0,1] op_sel_hi:[1,0] neg_lo:[0,1] neg_hi:[0,1]
	v_pk_add_f16 v2, v2, v7 op_sel:[0,1] op_sel_hi:[1,0]
	v_pk_mul_f16 v10, v24, s7 op_sel_hi:[1,0]
	v_pk_add_f16 v8, v8, v10 op_sel:[0,1] op_sel_hi:[1,0]
	v_pk_add_f16 v2, v2, v10 op_sel:[0,1] op_sel_hi:[1,0] neg_lo:[0,1] neg_hi:[0,1]
	v_bfi_b32 v10, s6, v8, v2
	v_bfi_b32 v2, s6, v2, v8
	v_pk_fma_f16 v10, v6, s13, v10 op_sel_hi:[1,0,1]
	v_pk_fma_f16 v2, v6, s13, v2 op_sel_hi:[1,0,1]
	ds_write2_b32 v89, v10, v2 offset0:2 offset1:3
	v_bfi_b32 v2, s6, v23, v28
	v_bfi_b32 v16, s6, v16, v25
	v_pk_add_f16 v3, v3, v11
	v_pk_fma_f16 v2, v27, s13, v2 op_sel_hi:[1,0,1]
	v_pk_fma_f16 v16, v22, s13, v16 op_sel_hi:[1,0,1]
	;; [unrolled: 1-line block ×4, first 2 shown]
	ds_write_b32 v89, v2 offset:16
	ds_write2_b32 v92, v3, v17 offset1:1
	ds_write2_b32 v92, v4, v16 offset0:2 offset1:3
	ds_write_b32 v92, v18 offset:16
	v_pk_add_f16 v2, v14, v9
	v_pk_add_f16 v3, v5, v21 neg_lo:[0,1] neg_hi:[0,1]
	v_pk_fma_f16 v2, v2, 0.5, v12 op_sel_hi:[1,0,1] neg_lo:[1,0,0] neg_hi:[1,0,0]
	v_pk_mul_f16 v4, v3, s12 op_sel_hi:[1,0]
	v_pk_add_f16 v6, v14, v9 neg_lo:[0,1] neg_hi:[0,1]
	v_pk_add_f16 v10, v5, v14 neg_lo:[0,1] neg_hi:[0,1]
	;; [unrolled: 1-line block ×3, first 2 shown]
	v_pk_add_f16 v7, v12, v5
	v_pk_mul_f16 v8, v6, s7 op_sel_hi:[1,0]
	v_pk_add_f16 v10, v10, v11
	v_pk_add_f16 v11, v2, v4 op_sel:[0,1] op_sel_hi:[1,0]
	v_pk_add_f16 v2, v2, v4 op_sel:[0,1] op_sel_hi:[1,0] neg_lo:[0,1] neg_hi:[0,1]
	v_pk_add_f16 v7, v7, v14
	v_pk_add_f16 v4, v11, v8 op_sel:[0,1] op_sel_hi:[1,0]
	v_pk_add_f16 v2, v2, v8 op_sel:[0,1] op_sel_hi:[1,0] neg_lo:[0,1] neg_hi:[0,1]
	v_pk_add_f16 v7, v7, v9
	v_bfi_b32 v8, s6, v4, v2
	v_bfi_b32 v2, s6, v2, v4
	v_pk_add_f16 v7, v7, v21
	v_pk_fma_f16 v8, v10, s13, v8 op_sel_hi:[1,0,1]
	v_pk_fma_f16 v2, v10, s13, v2 op_sel_hi:[1,0,1]
	s_movk_i32 s0, 0xcd
	ds_write2_b32 v90, v7, v8 offset1:1
	v_pk_add_f16 v7, v5, v21
	ds_write_b32 v90, v2 offset:16
	v_mul_lo_u16_sdwa v2, v81, s0 dst_sel:DWORD dst_unused:UNUSED_PAD src0_sel:BYTE_0 src1_sel:DWORD
	v_pk_fma_f16 v7, v7, 0.5, v12 op_sel_hi:[1,0,1] neg_lo:[1,0,0] neg_hi:[1,0,0]
	v_pk_add_f16 v5, v14, v5 neg_lo:[0,1] neg_hi:[0,1]
	v_pk_add_f16 v8, v9, v21 neg_lo:[0,1] neg_hi:[0,1]
	v_pk_mul_f16 v6, v6, s12 op_sel_hi:[1,0]
	v_lshrrev_b16_e32 v16, 10, v2
	v_pk_add_f16 v5, v5, v8
	v_pk_mul_f16 v3, v3, s7 op_sel_hi:[1,0]
	v_pk_add_f16 v8, v7, v6 op_sel:[0,1] op_sel_hi:[1,0] neg_lo:[0,1] neg_hi:[0,1]
	v_pk_add_f16 v6, v7, v6 op_sel:[0,1] op_sel_hi:[1,0]
	v_mul_lo_u16_e32 v2, 5, v16
	v_pk_add_f16 v7, v8, v3 op_sel:[0,1] op_sel_hi:[1,0]
	v_pk_add_f16 v3, v6, v3 op_sel:[0,1] op_sel_hi:[1,0] neg_lo:[0,1] neg_hi:[0,1]
	v_sub_u16_e32 v2, v81, v2
	v_bfi_b32 v6, s6, v7, v3
	v_bfi_b32 v3, s6, v3, v7
	v_and_b32_e32 v17, 0xff, v2
	v_pk_fma_f16 v6, v5, s13, v6 op_sel_hi:[1,0,1]
	v_pk_fma_f16 v3, v5, s13, v3 op_sel_hi:[1,0,1]
	v_lshlrev_b32_e32 v2, 3, v17
	ds_write2_b32 v90, v6, v3 offset0:2 offset1:3
	s_waitcnt lgkmcnt(0)
	s_barrier
	global_load_dwordx2 v[2:3], v2, s[2:3]
	s_mov_b32 s15, 0xcccd
	v_mul_u32_u24_sdwa v4, v55, s15 dst_sel:DWORD dst_unused:UNUSED_PAD src0_sel:WORD_0 src1_sel:DWORD
	v_lshrrev_b32_e32 v24, 18, v4
	v_mul_lo_u16_e32 v4, 5, v24
	v_sub_u16_e32 v25, v55, v4
	v_lshlrev_b16_e32 v4, 1, v25
	v_lshlrev_b32_e32 v4, 2, v4
	global_load_dwordx2 v[4:5], v4, s[2:3]
	v_mul_u32_u24_sdwa v6, v54, s15 dst_sel:DWORD dst_unused:UNUSED_PAD src0_sel:WORD_0 src1_sel:DWORD
	v_lshrrev_b32_e32 v28, 18, v6
	v_mul_lo_u16_e32 v6, 5, v28
	s_movk_i32 s0, 0x2d9
	v_sub_u16_e32 v29, v54, v6
	v_add_co_u32_e32 v63, vcc, s0, v81
	v_lshlrev_b16_e32 v6, 1, v29
	v_lshlrev_b32_e32 v14, 2, v6
	v_mul_u32_u24_sdwa v6, v63, s15 dst_sel:DWORD dst_unused:UNUSED_PAD src0_sel:WORD_0 src1_sel:DWORD
	v_lshrrev_b32_e32 v30, 18, v6
	v_mul_lo_u16_e32 v6, 5, v30
	v_sub_u16_e32 v31, v63, v6
	ds_read2_b32 v[8:9], v78 offset0:12 offset1:255
	v_lshlrev_b16_e32 v6, 1, v31
	v_lshlrev_b32_e32 v15, 2, v6
	ds_read2_b32 v[12:13], v76 offset0:6 offset1:249
	global_load_dwordx2 v[6:7], v14, s[2:3]
	global_load_dwordx2 v[10:11], v15, s[2:3]
	ds_read2_b32 v[14:15], v64 offset1:243
	s_waitcnt lgkmcnt(2)
	v_lshrrev_b32_e32 v18, 16, v9
	s_movk_i32 s0, 0x3aee
	s_waitcnt lgkmcnt(1)
	v_lshrrev_b32_e32 v20, 16, v12
	s_mov_b32 s1, 0xbaee
	s_waitcnt lgkmcnt(0)
	v_lshrrev_b32_e32 v22, 16, v14
	s_movk_i32 s16, 0x3cc
	v_add_co_u32_e32 v62, vcc, s16, v81
	ds_read_b32 v39, v64 offset:13608
	s_movk_i32 s16, 0xff79
	s_waitcnt vmcnt(3)
	v_mul_f16_sdwa v19, v9, v2 dst_sel:DWORD dst_unused:UNUSED_PAD src0_sel:DWORD src1_sel:WORD_1
	v_fma_f16 v19, v18, v2, v19
	v_mul_f16_sdwa v21, v12, v3 dst_sel:DWORD dst_unused:UNUSED_PAD src0_sel:DWORD src1_sel:WORD_1
	v_mul_f16_sdwa v18, v18, v2 dst_sel:DWORD dst_unused:UNUSED_PAD src0_sel:DWORD src1_sel:WORD_1
	v_fma_f16 v21, v20, v3, v21
	v_fma_f16 v9, v9, v2, -v18
	v_mul_f16_sdwa v18, v20, v3 dst_sel:DWORD dst_unused:UNUSED_PAD src0_sel:DWORD src1_sel:WORD_1
	v_add_f16_e32 v23, v22, v19
	v_sub_f16_e32 v34, v19, v21
	v_add_f16_e32 v19, v19, v21
	v_fma_f16 v12, v12, v3, -v18
	v_fma_f16 v35, v19, -0.5, v22
	v_add_f16_e32 v18, v14, v9
	v_add_f16_e32 v19, v9, v12
	;; [unrolled: 1-line block ×3, first 2 shown]
	v_sub_f16_e32 v9, v9, v12
	v_mul_u32_u24_e32 v12, 15, v16
	v_fma_f16 v14, v19, -0.5, v14
	v_add_lshl_u32 v91, v12, v17, 2
	v_fma_f16 v16, v34, s0, v14
	v_fma_f16 v17, v9, s1, v35
	v_pack_b32_f16 v36, v16, v17
	v_mul_u32_u24_sdwa v16, v62, s15 dst_sel:DWORD dst_unused:UNUSED_PAD src0_sel:WORD_0 src1_sel:DWORD
	v_lshrrev_b32_e32 v37, 18, v16
	v_mul_lo_u16_e32 v16, 5, v37
	v_sub_u16_e32 v38, v62, v16
	v_lshlrev_b16_e32 v16, 1, v38
	v_lshlrev_b32_e32 v16, 2, v16
	global_load_dwordx2 v[26:27], v16, s[2:3]
	v_add_f16_e32 v23, v23, v21
	v_pack_b32_f16 v12, v18, v23
	ds_read2_b32 v[16:17], v85 offset0:2 offset1:245
	ds_read2_b32 v[18:19], v86 offset0:6 offset1:249
	;; [unrolled: 1-line block ×4, first 2 shown]
	s_waitcnt vmcnt(0) lgkmcnt(0)
	s_barrier
	ds_write2_b32 v91, v12, v36 offset1:5
	v_lshrrev_b32_e32 v12, 16, v13
	v_mul_f16_sdwa v36, v12, v5 dst_sel:DWORD dst_unused:UNUSED_PAD src0_sel:DWORD src1_sel:WORD_1
	v_fma_f16 v36, v13, v5, -v36
	v_mul_f16_sdwa v13, v13, v5 dst_sel:DWORD dst_unused:UNUSED_PAD src0_sel:DWORD src1_sel:WORD_1
	v_fma_f16 v12, v12, v5, v13
	v_fma_f16 v13, v34, s1, v14
	v_lshrrev_b32_e32 v14, 16, v16
	v_mul_f16_sdwa v34, v16, v4 dst_sel:DWORD dst_unused:UNUSED_PAD src0_sel:DWORD src1_sel:WORD_1
	v_fma_f16 v34, v14, v4, v34
	v_mul_f16_sdwa v14, v14, v4 dst_sel:DWORD dst_unused:UNUSED_PAD src0_sel:DWORD src1_sel:WORD_1
	v_fma_f16 v9, v9, s0, v35
	v_fma_f16 v14, v16, v4, -v14
	v_lshrrev_b32_e32 v35, 16, v15
	v_add_f16_e32 v16, v14, v36
	v_add_f16_e32 v40, v35, v34
	v_fma_f16 v16, v16, -0.5, v15
	v_add_f16_e32 v15, v15, v14
	v_add_f16_e32 v40, v40, v12
	v_sub_f16_e32 v41, v34, v12
	v_add_f16_e32 v12, v34, v12
	v_fma_f16 v12, v12, -0.5, v35
	v_add_f16_e32 v15, v15, v36
	v_sub_f16_e32 v14, v14, v36
	v_pack_b32_f16 v9, v13, v9
	ds_write_b32 v91, v9 offset:40
	v_mad_legacy_u16 v9, v24, 15, v25
	v_pack_b32_f16 v13, v15, v40
	v_fma_f16 v15, v41, s0, v16
	v_fma_f16 v24, v14, s1, v12
	v_pack_b32_f16 v15, v15, v24
	v_lshlrev_b32_e32 v93, 2, v9
	ds_write2_b32 v93, v13, v15 offset1:5
	v_lshrrev_b32_e32 v9, 16, v17
	v_mul_f16_sdwa v15, v17, v6 dst_sel:DWORD dst_unused:UNUSED_PAD src0_sel:DWORD src1_sel:WORD_1
	v_mul_f16_sdwa v13, v9, v6 dst_sel:DWORD dst_unused:UNUSED_PAD src0_sel:DWORD src1_sel:WORD_1
	v_fma_f16 v9, v9, v6, v15
	v_fma_f16 v15, v41, s1, v16
	;; [unrolled: 1-line block ×3, first 2 shown]
	v_lshrrev_b32_e32 v14, 16, v20
	v_mul_f16_sdwa v16, v20, v7 dst_sel:DWORD dst_unused:UNUSED_PAD src0_sel:DWORD src1_sel:WORD_1
	v_fma_f16 v13, v17, v6, -v13
	v_fma_f16 v16, v14, v7, v16
	v_lshrrev_b32_e32 v17, 16, v18
	v_mul_f16_sdwa v14, v14, v7 dst_sel:DWORD dst_unused:UNUSED_PAD src0_sel:DWORD src1_sel:WORD_1
	v_add_f16_e32 v24, v17, v9
	v_sub_f16_e32 v25, v9, v16
	v_add_f16_e32 v9, v9, v16
	v_fma_f16 v14, v20, v7, -v14
	v_add_f16_e32 v24, v24, v16
	v_fma_f16 v9, v9, -0.5, v17
	v_add_f16_e32 v16, v18, v13
	v_add_f16_e32 v17, v13, v14
	;; [unrolled: 1-line block ×3, first 2 shown]
	v_sub_f16_e32 v13, v13, v14
	v_pack_b32_f16 v12, v15, v12
	v_fma_f16 v15, v17, -0.5, v18
	ds_write_b32 v93, v12 offset:40
	v_mad_legacy_u16 v12, v28, 15, v29
	v_pack_b32_f16 v14, v16, v24
	v_fma_f16 v16, v25, s0, v15
	v_fma_f16 v17, v13, s1, v9
	v_pack_b32_f16 v16, v16, v17
	v_lshlrev_b32_e32 v94, 2, v12
	ds_write2_b32 v94, v14, v16 offset1:5
	v_lshrrev_b32_e32 v12, 16, v21
	v_mul_f16_sdwa v16, v21, v11 dst_sel:DWORD dst_unused:UNUSED_PAD src0_sel:DWORD src1_sel:WORD_1
	v_mul_f16_sdwa v14, v12, v11 dst_sel:DWORD dst_unused:UNUSED_PAD src0_sel:DWORD src1_sel:WORD_1
	v_fma_f16 v12, v12, v11, v16
	v_fma_f16 v9, v13, s0, v9
	v_lshrrev_b32_e32 v13, 16, v22
	v_mul_f16_sdwa v16, v22, v10 dst_sel:DWORD dst_unused:UNUSED_PAD src0_sel:DWORD src1_sel:WORD_1
	v_fma_f16 v16, v13, v10, v16
	v_mul_f16_sdwa v13, v13, v10 dst_sel:DWORD dst_unused:UNUSED_PAD src0_sel:DWORD src1_sel:WORD_1
	v_fma_f16 v14, v21, v11, -v14
	v_fma_f16 v13, v22, v10, -v13
	v_lshrrev_b32_e32 v18, 16, v19
	v_add_f16_e32 v17, v13, v14
	v_add_f16_e32 v20, v18, v16
	v_fma_f16 v15, v25, s1, v15
	v_fma_f16 v17, v17, -0.5, v19
	v_add_f16_e32 v19, v19, v13
	v_add_f16_e32 v20, v20, v12
	v_sub_f16_e32 v21, v16, v12
	v_add_f16_e32 v12, v16, v12
	v_fma_f16 v12, v12, -0.5, v18
	v_add_f16_e32 v16, v19, v14
	v_sub_f16_e32 v13, v13, v14
	v_pack_b32_f16 v9, v15, v9
	ds_write_b32 v94, v9 offset:40
	v_mad_legacy_u16 v9, v30, 15, v31
	v_pack_b32_f16 v14, v16, v20
	v_fma_f16 v15, v21, s0, v17
	v_fma_f16 v16, v13, s1, v12
	v_pack_b32_f16 v15, v15, v16
	v_lshlrev_b32_e32 v97, 2, v9
	ds_write2_b32 v97, v14, v15 offset1:5
	v_lshrrev_b32_e32 v9, 16, v23
	v_mul_f16_sdwa v15, v23, v26 dst_sel:DWORD dst_unused:UNUSED_PAD src0_sel:DWORD src1_sel:WORD_1
	v_mul_f16_sdwa v14, v9, v26 dst_sel:DWORD dst_unused:UNUSED_PAD src0_sel:DWORD src1_sel:WORD_1
	v_fma_f16 v9, v9, v26, v15
	v_lshrrev_b32_e32 v15, 16, v39
	v_mul_f16_sdwa v16, v15, v27 dst_sel:DWORD dst_unused:UNUSED_PAD src0_sel:DWORD src1_sel:WORD_1
	v_fma_f16 v14, v23, v26, -v14
	v_fma_f16 v16, v39, v27, -v16
	v_mul_f16_sdwa v18, v39, v27 dst_sel:DWORD dst_unused:UNUSED_PAD src0_sel:DWORD src1_sel:WORD_1
	v_fma_f16 v15, v15, v27, v18
	v_fma_f16 v12, v13, s0, v12
	v_add_f16_e32 v13, v14, v16
	v_fma_f16 v13, v13, -0.5, v8
	v_lshrrev_b32_e32 v18, 16, v8
	v_sub_f16_e32 v19, v9, v15
	v_fma_f16 v17, v21, s1, v17
	v_fma_f16 v20, v19, s0, v13
	;; [unrolled: 1-line block ×3, first 2 shown]
	v_add_f16_e32 v19, v18, v9
	v_add_f16_e32 v9, v9, v15
	;; [unrolled: 1-line block ×3, first 2 shown]
	v_fma_f16 v9, v9, -0.5, v18
	v_sub_f16_e32 v14, v14, v16
	v_pack_b32_f16 v12, v17, v12
	v_add_f16_e32 v19, v19, v15
	v_add_f16_e32 v8, v8, v16
	v_fma_f16 v15, v14, s1, v9
	ds_write_b32 v97, v12 offset:40
	v_mad_legacy_u16 v12, v37, 15, v38
	v_fma_f16 v9, v14, s0, v9
	v_pack_b32_f16 v8, v8, v19
	v_lshlrev_b32_e32 v98, 2, v12
	v_pack_b32_f16 v12, v20, v15
	ds_write2_b32 v98, v8, v12 offset1:5
	v_pack_b32_f16 v8, v13, v9
	s_movk_i32 s15, 0x89
	ds_write_b32 v98, v8 offset:40
	v_mul_lo_u16_sdwa v8, v81, s15 dst_sel:DWORD dst_unused:UNUSED_PAD src0_sel:BYTE_0 src1_sel:DWORD
	v_lshrrev_b16_e32 v24, 11, v8
	v_mul_lo_u16_e32 v8, 15, v24
	v_sub_u16_e32 v8, v81, v8
	s_mov_b32 s15, 0x8889
	v_and_b32_e32 v25, 0xff, v8
	v_mul_u32_u24_sdwa v8, v54, s15 dst_sel:DWORD dst_unused:UNUSED_PAD src0_sel:WORD_0 src1_sel:DWORD
	v_lshrrev_b32_e32 v36, 19, v8
	v_mul_lo_u16_e32 v8, 15, v36
	v_sub_u16_e32 v37, v54, v8
	v_lshlrev_b16_e32 v8, 3, v37
	v_add_co_u32_e32 v12, vcc, s2, v8
	v_mul_u32_u24_sdwa v8, v63, s15 dst_sel:DWORD dst_unused:UNUSED_PAD src0_sel:WORD_0 src1_sel:DWORD
	v_lshrrev_b32_e32 v38, 19, v8
	v_mul_lo_u16_e32 v8, 15, v38
	v_sub_u16_e32 v39, v63, v8
	v_addc_co_u32_e32 v13, vcc, 0, v117, vcc
	v_lshlrev_b16_e32 v8, 3, v39
	v_add_co_u32_e32 v16, vcc, s2, v8
	s_waitcnt lgkmcnt(0)
	s_barrier
	v_addc_co_u32_e32 v17, vcc, 0, v117, vcc
	global_load_dwordx2 v[8:9], v[12:13], off offset:40
	global_load_dwordx2 v[14:15], v[16:17], off offset:40
	v_lshlrev_b32_e32 v12, 3, v25
	global_load_dwordx2 v[12:13], v12, s[2:3] offset:40
	v_mul_u32_u24_sdwa v16, v55, s15 dst_sel:DWORD dst_unused:UNUSED_PAD src0_sel:WORD_0 src1_sel:DWORD
	v_lshrrev_b32_e32 v40, 19, v16
	v_mul_lo_u16_e32 v16, 15, v40
	v_sub_u16_e32 v41, v55, v16
	v_lshlrev_b16_e32 v16, 3, v41
	v_add_co_u32_e32 v16, vcc, s2, v16
	v_addc_co_u32_e32 v17, vcc, 0, v117, vcc
	global_load_dwordx2 v[16:17], v[16:17], off offset:40
	ds_read2_b32 v[18:19], v78 offset0:12 offset1:255
	ds_read2_b32 v[20:21], v76 offset0:6 offset1:249
	ds_read2_b32 v[22:23], v64 offset1:243
	s_waitcnt lgkmcnt(2)
	v_lshrrev_b32_e32 v28, 16, v19
	s_waitcnt lgkmcnt(1)
	v_lshrrev_b32_e32 v30, 16, v20
	;; [unrolled: 2-line block ×3, first 2 shown]
	s_waitcnt vmcnt(1)
	v_mul_f16_sdwa v29, v19, v12 dst_sel:DWORD dst_unused:UNUSED_PAD src0_sel:DWORD src1_sel:WORD_1
	v_fma_f16 v29, v28, v12, v29
	v_mul_f16_sdwa v31, v20, v13 dst_sel:DWORD dst_unused:UNUSED_PAD src0_sel:DWORD src1_sel:WORD_1
	v_mul_f16_sdwa v28, v28, v12 dst_sel:DWORD dst_unused:UNUSED_PAD src0_sel:DWORD src1_sel:WORD_1
	v_fma_f16 v31, v30, v13, v31
	v_fma_f16 v19, v19, v12, -v28
	v_mul_f16_sdwa v28, v30, v13 dst_sel:DWORD dst_unused:UNUSED_PAD src0_sel:DWORD src1_sel:WORD_1
	v_add_f16_e32 v35, v34, v29
	v_sub_f16_e32 v43, v29, v31
	v_add_f16_e32 v29, v29, v31
	v_fma_f16 v20, v20, v13, -v28
	v_fma_f16 v44, v29, -0.5, v34
	v_add_f16_e32 v29, v19, v20
	v_add_f16_e32 v28, v22, v19
	v_sub_f16_e32 v45, v19, v20
	v_mul_u32_u24_e32 v19, 45, v24
	v_fma_f16 v22, v29, -0.5, v22
	v_add_f16_e32 v28, v28, v20
	v_add_lshl_u32 v99, v19, v25, 2
	v_fma_f16 v19, v43, s0, v22
	v_fma_f16 v20, v45, s1, v44
	v_pack_b32_f16 v47, v19, v20
	v_mul_u32_u24_sdwa v19, v62, s15 dst_sel:DWORD dst_unused:UNUSED_PAD src0_sel:WORD_0 src1_sel:DWORD
	v_lshrrev_b32_e32 v48, 19, v19
	v_mul_lo_u16_e32 v19, 15, v48
	v_sub_u16_e32 v49, v62, v19
	v_lshlrev_b16_e32 v19, 3, v49
	v_add_co_u32_e32 v19, vcc, s2, v19
	v_addc_co_u32_e32 v20, vcc, 0, v117, vcc
	v_add_f16_e32 v35, v35, v31
	global_load_dwordx2 v[30:31], v[19:20], off offset:40
	v_pack_b32_f16 v46, v28, v35
	ds_read_b32 v50, v64 offset:13608
	ds_read2_b32 v[19:20], v85 offset0:2 offset1:245
	ds_read2_b32 v[24:25], v86 offset0:6 offset1:249
	;; [unrolled: 1-line block ×4, first 2 shown]
	s_waitcnt vmcnt(0) lgkmcnt(0)
	s_barrier
	ds_write2_b32 v99, v46, v47 offset1:15
	v_lshrrev_b32_e32 v46, 16, v21
	v_mul_f16_sdwa v47, v46, v17 dst_sel:DWORD dst_unused:UNUSED_PAD src0_sel:DWORD src1_sel:WORD_1
	v_fma_f16 v47, v21, v17, -v47
	v_mul_f16_sdwa v21, v21, v17 dst_sel:DWORD dst_unused:UNUSED_PAD src0_sel:DWORD src1_sel:WORD_1
	v_fma_f16 v22, v43, s1, v22
	v_fma_f16 v43, v45, s0, v44
	v_lshrrev_b32_e32 v44, 16, v19
	v_mul_f16_sdwa v45, v19, v16 dst_sel:DWORD dst_unused:UNUSED_PAD src0_sel:DWORD src1_sel:WORD_1
	v_fma_f16 v21, v46, v17, v21
	v_fma_f16 v45, v44, v16, v45
	v_mul_f16_sdwa v44, v44, v16 dst_sel:DWORD dst_unused:UNUSED_PAD src0_sel:DWORD src1_sel:WORD_1
	v_lshrrev_b32_e32 v46, 16, v23
	v_fma_f16 v19, v19, v16, -v44
	v_add_f16_e32 v51, v46, v45
	v_add_f16_e32 v44, v19, v47
	;; [unrolled: 1-line block ×3, first 2 shown]
	v_sub_f16_e32 v52, v45, v21
	v_add_f16_e32 v21, v45, v21
	v_fma_f16 v44, v44, -0.5, v23
	v_add_f16_e32 v23, v23, v19
	v_fma_f16 v21, v21, -0.5, v46
	v_sub_f16_e32 v19, v19, v47
	v_pack_b32_f16 v22, v22, v43
	v_add_f16_e32 v23, v23, v47
	ds_write_b32 v99, v22 offset:120
	v_mad_legacy_u16 v22, v40, 45, v41
	v_fma_f16 v40, v52, s0, v44
	v_fma_f16 v41, v19, s1, v21
	v_pack_b32_f16 v23, v23, v51
	v_pack_b32_f16 v40, v40, v41
	v_lshlrev_b32_e32 v100, 2, v22
	v_lshrrev_b32_e32 v22, 16, v20
	ds_write2_b32 v100, v23, v40 offset1:15
	v_mul_f16_sdwa v23, v22, v8 dst_sel:DWORD dst_unused:UNUSED_PAD src0_sel:DWORD src1_sel:WORD_1
	v_fma_f16 v23, v20, v8, -v23
	v_mul_f16_sdwa v20, v20, v8 dst_sel:DWORD dst_unused:UNUSED_PAD src0_sel:DWORD src1_sel:WORD_1
	v_fma_f16 v19, v19, s0, v21
	v_lshrrev_b32_e32 v21, 16, v28
	v_mul_f16_sdwa v40, v28, v9 dst_sel:DWORD dst_unused:UNUSED_PAD src0_sel:DWORD src1_sel:WORD_1
	v_fma_f16 v20, v22, v8, v20
	v_fma_f16 v40, v21, v9, v40
	v_lshrrev_b32_e32 v41, 16, v24
	v_mul_f16_sdwa v21, v21, v9 dst_sel:DWORD dst_unused:UNUSED_PAD src0_sel:DWORD src1_sel:WORD_1
	v_add_f16_e32 v43, v41, v20
	v_fma_f16 v21, v28, v9, -v21
	v_fma_f16 v22, v52, s1, v44
	v_add_f16_e32 v43, v43, v40
	v_sub_f16_e32 v44, v20, v40
	v_add_f16_e32 v20, v20, v40
	v_add_f16_e32 v28, v24, v23
	;; [unrolled: 1-line block ×3, first 2 shown]
	v_fma_f16 v20, v20, -0.5, v41
	v_add_f16_e32 v28, v28, v21
	v_sub_f16_e32 v21, v23, v21
	v_pack_b32_f16 v19, v22, v19
	v_fma_f16 v23, v40, -0.5, v24
	ds_write_b32 v100, v19 offset:120
	v_mad_legacy_u16 v19, v36, 45, v37
	v_pack_b32_f16 v22, v28, v43
	v_fma_f16 v24, v44, s0, v23
	v_fma_f16 v28, v21, s1, v20
	v_pack_b32_f16 v24, v24, v28
	v_lshlrev_b32_e32 v101, 2, v19
	ds_write2_b32 v101, v22, v24 offset1:15
	v_lshrrev_b32_e32 v19, 16, v29
	v_mul_f16_sdwa v24, v29, v15 dst_sel:DWORD dst_unused:UNUSED_PAD src0_sel:DWORD src1_sel:WORD_1
	v_mul_f16_sdwa v22, v19, v15 dst_sel:DWORD dst_unused:UNUSED_PAD src0_sel:DWORD src1_sel:WORD_1
	v_fma_f16 v19, v19, v15, v24
	v_fma_f16 v20, v21, s0, v20
	v_lshrrev_b32_e32 v21, 16, v34
	v_mul_f16_sdwa v24, v34, v14 dst_sel:DWORD dst_unused:UNUSED_PAD src0_sel:DWORD src1_sel:WORD_1
	v_fma_f16 v24, v21, v14, v24
	v_mul_f16_sdwa v21, v21, v14 dst_sel:DWORD dst_unused:UNUSED_PAD src0_sel:DWORD src1_sel:WORD_1
	v_fma_f16 v22, v29, v15, -v22
	v_fma_f16 v21, v34, v14, -v21
	v_lshrrev_b32_e32 v29, 16, v25
	v_add_f16_e32 v28, v21, v22
	v_add_f16_e32 v34, v29, v24
	v_fma_f16 v23, v44, s1, v23
	v_fma_f16 v28, v28, -0.5, v25
	v_add_f16_e32 v25, v25, v21
	v_add_f16_e32 v34, v34, v19
	v_sub_f16_e32 v36, v24, v19
	v_add_f16_e32 v19, v24, v19
	v_fma_f16 v19, v19, -0.5, v29
	v_add_f16_e32 v24, v25, v22
	v_sub_f16_e32 v21, v21, v22
	v_pack_b32_f16 v20, v23, v20
	ds_write_b32 v101, v20 offset:120
	v_mad_legacy_u16 v20, v38, 45, v39
	v_pack_b32_f16 v22, v24, v34
	v_fma_f16 v23, v36, s0, v28
	v_fma_f16 v24, v21, s1, v19
	v_pack_b32_f16 v23, v23, v24
	v_lshlrev_b32_e32 v102, 2, v20
	ds_write2_b32 v102, v22, v23 offset1:15
	v_lshrrev_b32_e32 v20, 16, v35
	v_mul_f16_sdwa v23, v35, v30 dst_sel:DWORD dst_unused:UNUSED_PAD src0_sel:DWORD src1_sel:WORD_1
	v_mul_f16_sdwa v22, v20, v30 dst_sel:DWORD dst_unused:UNUSED_PAD src0_sel:DWORD src1_sel:WORD_1
	v_fma_f16 v20, v20, v30, v23
	v_lshrrev_b32_e32 v23, 16, v50
	v_mul_f16_sdwa v24, v23, v31 dst_sel:DWORD dst_unused:UNUSED_PAD src0_sel:DWORD src1_sel:WORD_1
	v_mul_f16_sdwa v25, v50, v31 dst_sel:DWORD dst_unused:UNUSED_PAD src0_sel:DWORD src1_sel:WORD_1
	v_fma_f16 v22, v35, v30, -v22
	v_fma_f16 v24, v50, v31, -v24
	v_fma_f16 v23, v23, v31, v25
	v_fma_f16 v25, v36, s1, v28
	v_lshrrev_b32_e32 v28, 16, v18
	v_fma_f16 v19, v21, s0, v19
	v_add_f16_e32 v21, v22, v24
	v_add_f16_e32 v29, v28, v20
	v_sub_f16_e32 v34, v20, v23
	v_add_f16_e32 v20, v20, v23
	v_fma_f16 v21, v21, -0.5, v18
	v_add_f16_e32 v18, v18, v22
	v_fma_f16 v20, v20, -0.5, v28
	v_sub_f16_e32 v22, v22, v24
	v_pack_b32_f16 v19, v25, v19
	v_add_f16_e32 v29, v29, v23
	v_add_f16_e32 v18, v18, v24
	ds_write_b32 v102, v19 offset:120
	v_mad_legacy_u16 v19, v48, 45, v49
	v_fma_f16 v23, v34, s0, v21
	v_fma_f16 v24, v22, s1, v20
	v_pack_b32_f16 v18, v18, v29
	v_pack_b32_f16 v23, v23, v24
	v_lshlrev_b32_e32 v103, 2, v19
	ds_write2_b32 v103, v18, v23 offset1:15
	v_fma_f16 v18, v34, s1, v21
	v_fma_f16 v19, v22, s0, v20
	v_pack_b32_f16 v18, v18, v19
	s_movk_i32 s15, 0x6d
	ds_write_b32 v103, v18 offset:120
	v_mul_lo_u16_sdwa v18, v81, s15 dst_sel:DWORD dst_unused:UNUSED_PAD src0_sel:BYTE_0 src1_sel:DWORD
	v_sub_u16_sdwa v19, v81, v18 dst_sel:DWORD dst_unused:UNUSED_PAD src0_sel:DWORD src1_sel:BYTE_1
	v_lshrrev_b16_e32 v19, 1, v19
	v_and_b32_e32 v19, 0x7f, v19
	v_add_u16_sdwa v18, v19, v18 dst_sel:DWORD dst_unused:UNUSED_PAD src0_sel:DWORD src1_sel:BYTE_1
	v_lshrrev_b16_e32 v38, 5, v18
	v_mul_lo_u16_e32 v18, 45, v38
	v_sub_u16_e32 v18, v81, v18
	s_movk_i32 s15, 0x2d83
	v_and_b32_e32 v39, 0xff, v18
	v_mul_u32_u24_sdwa v18, v54, s15 dst_sel:DWORD dst_unused:UNUSED_PAD src0_sel:WORD_0 src1_sel:DWORD
	v_lshrrev_b32_e32 v49, 19, v18
	v_mul_lo_u16_e32 v18, 45, v49
	v_sub_u16_e32 v50, v54, v18
	v_lshlrev_b16_e32 v18, 3, v50
	v_add_co_u32_e32 v20, vcc, s2, v18
	v_mul_u32_u24_sdwa v18, v63, s15 dst_sel:DWORD dst_unused:UNUSED_PAD src0_sel:WORD_0 src1_sel:DWORD
	v_lshrrev_b32_e32 v51, 19, v18
	v_mul_lo_u16_e32 v18, 45, v51
	v_sub_u16_e32 v52, v63, v18
	v_addc_co_u32_e32 v21, vcc, 0, v117, vcc
	v_lshlrev_b16_e32 v18, 3, v52
	v_add_co_u32_e32 v24, vcc, s2, v18
	s_waitcnt lgkmcnt(0)
	s_barrier
	v_addc_co_u32_e32 v25, vcc, 0, v117, vcc
	global_load_dwordx2 v[18:19], v[20:21], off offset:160
	global_load_dwordx2 v[22:23], v[24:25], off offset:160
	v_lshlrev_b32_e32 v20, 3, v39
	global_load_dwordx2 v[20:21], v20, s[2:3] offset:160
	v_mul_u32_u24_sdwa v24, v55, s15 dst_sel:DWORD dst_unused:UNUSED_PAD src0_sel:WORD_0 src1_sel:DWORD
	v_lshrrev_b32_e32 v53, 19, v24
	v_mul_lo_u16_e32 v24, 45, v53
	v_sub_u16_e32 v56, v55, v24
	v_lshlrev_b16_e32 v24, 3, v56
	v_add_co_u32_e32 v24, vcc, s2, v24
	v_addc_co_u32_e32 v25, vcc, 0, v117, vcc
	global_load_dwordx2 v[24:25], v[24:25], off offset:160
	ds_read2_b32 v[28:29], v78 offset0:12 offset1:255
	ds_read2_b32 v[34:35], v76 offset0:6 offset1:249
	ds_read2_b32 v[36:37], v64 offset1:243
	s_waitcnt lgkmcnt(2)
	v_lshrrev_b32_e32 v40, 16, v29
	s_waitcnt lgkmcnt(1)
	v_lshrrev_b32_e32 v43, 16, v34
	;; [unrolled: 2-line block ×3, first 2 shown]
	s_waitcnt vmcnt(1)
	v_mul_f16_sdwa v41, v29, v20 dst_sel:DWORD dst_unused:UNUSED_PAD src0_sel:DWORD src1_sel:WORD_1
	v_fma_f16 v41, v40, v20, v41
	v_mul_f16_sdwa v44, v34, v21 dst_sel:DWORD dst_unused:UNUSED_PAD src0_sel:DWORD src1_sel:WORD_1
	v_mul_f16_sdwa v40, v40, v20 dst_sel:DWORD dst_unused:UNUSED_PAD src0_sel:DWORD src1_sel:WORD_1
	v_fma_f16 v44, v43, v21, v44
	v_fma_f16 v29, v29, v20, -v40
	v_mul_f16_sdwa v40, v43, v21 dst_sel:DWORD dst_unused:UNUSED_PAD src0_sel:DWORD src1_sel:WORD_1
	v_add_f16_e32 v46, v45, v41
	v_sub_f16_e32 v57, v41, v44
	v_add_f16_e32 v41, v41, v44
	v_fma_f16 v34, v34, v21, -v40
	v_fma_f16 v58, v41, -0.5, v45
	v_add_f16_e32 v40, v36, v29
	v_add_f16_e32 v41, v29, v34
	;; [unrolled: 1-line block ×3, first 2 shown]
	v_sub_f16_e32 v29, v29, v34
	v_mul_u32_u24_e32 v34, 0x87, v38
	v_fma_f16 v36, v41, -0.5, v36
	v_add_lshl_u32 v104, v34, v39, 2
	v_fma_f16 v38, v57, s0, v36
	v_fma_f16 v39, v29, s1, v58
	v_pack_b32_f16 v59, v38, v39
	v_mul_u32_u24_sdwa v38, v62, s15 dst_sel:DWORD dst_unused:UNUSED_PAD src0_sel:WORD_0 src1_sel:DWORD
	v_lshrrev_b32_e32 v60, 19, v38
	v_mul_lo_u16_e32 v38, 45, v60
	v_sub_u16_e32 v61, v62, v38
	v_lshlrev_b16_e32 v38, 3, v61
	v_add_co_u32_e32 v38, vcc, s2, v38
	v_addc_co_u32_e32 v39, vcc, 0, v117, vcc
	global_load_dwordx2 v[38:39], v[38:39], off offset:160
	v_add_f16_e32 v46, v46, v44
	v_pack_b32_f16 v34, v40, v46
	ds_read_b32 v105, v64 offset:13608
	ds_read2_b32 v[40:41], v85 offset0:2 offset1:245
	ds_read2_b32 v[43:44], v86 offset0:6 offset1:249
	;; [unrolled: 1-line block ×4, first 2 shown]
	s_waitcnt vmcnt(0) lgkmcnt(0)
	s_barrier
	ds_write2_b32 v104, v34, v59 offset1:45
	v_lshrrev_b32_e32 v34, 16, v35
	v_mul_f16_sdwa v59, v34, v25 dst_sel:DWORD dst_unused:UNUSED_PAD src0_sel:DWORD src1_sel:WORD_1
	v_fma_f16 v59, v35, v25, -v59
	v_mul_f16_sdwa v35, v35, v25 dst_sel:DWORD dst_unused:UNUSED_PAD src0_sel:DWORD src1_sel:WORD_1
	v_fma_f16 v34, v34, v25, v35
	v_fma_f16 v35, v57, s1, v36
	v_lshrrev_b32_e32 v36, 16, v40
	v_mul_f16_sdwa v57, v40, v24 dst_sel:DWORD dst_unused:UNUSED_PAD src0_sel:DWORD src1_sel:WORD_1
	v_fma_f16 v57, v36, v24, v57
	v_mul_f16_sdwa v36, v36, v24 dst_sel:DWORD dst_unused:UNUSED_PAD src0_sel:DWORD src1_sel:WORD_1
	v_fma_f16 v29, v29, s0, v58
	v_fma_f16 v36, v40, v24, -v36
	v_lshrrev_b32_e32 v58, 16, v37
	v_add_f16_e32 v40, v36, v59
	v_add_f16_e32 v106, v58, v57
	v_fma_f16 v40, v40, -0.5, v37
	v_add_f16_e32 v37, v37, v36
	v_add_f16_e32 v106, v106, v34
	v_sub_f16_e32 v107, v57, v34
	v_add_f16_e32 v34, v57, v34
	v_fma_f16 v34, v34, -0.5, v58
	v_add_f16_e32 v37, v37, v59
	v_sub_f16_e32 v36, v36, v59
	v_pack_b32_f16 v29, v35, v29
	s_movk_i32 s15, 0x87
	ds_write_b32 v104, v29 offset:360
	v_mad_legacy_u16 v29, v53, s15, v56
	v_pack_b32_f16 v35, v37, v106
	v_fma_f16 v37, v107, s0, v40
	v_fma_f16 v53, v36, s1, v34
	v_pack_b32_f16 v37, v37, v53
	v_lshlrev_b32_e32 v106, 2, v29
	ds_write2_b32 v106, v35, v37 offset1:45
	v_lshrrev_b32_e32 v29, 16, v41
	v_mul_f16_sdwa v37, v41, v18 dst_sel:DWORD dst_unused:UNUSED_PAD src0_sel:DWORD src1_sel:WORD_1
	v_mul_f16_sdwa v35, v29, v18 dst_sel:DWORD dst_unused:UNUSED_PAD src0_sel:DWORD src1_sel:WORD_1
	v_fma_f16 v29, v29, v18, v37
	v_fma_f16 v37, v107, s1, v40
	;; [unrolled: 1-line block ×3, first 2 shown]
	v_lshrrev_b32_e32 v36, 16, v45
	v_mul_f16_sdwa v40, v45, v19 dst_sel:DWORD dst_unused:UNUSED_PAD src0_sel:DWORD src1_sel:WORD_1
	v_fma_f16 v35, v41, v18, -v35
	v_fma_f16 v40, v36, v19, v40
	v_lshrrev_b32_e32 v41, 16, v43
	v_mul_f16_sdwa v36, v36, v19 dst_sel:DWORD dst_unused:UNUSED_PAD src0_sel:DWORD src1_sel:WORD_1
	v_add_f16_e32 v53, v41, v29
	v_sub_f16_e32 v56, v29, v40
	v_add_f16_e32 v29, v29, v40
	v_fma_f16 v36, v45, v19, -v36
	v_add_f16_e32 v53, v53, v40
	v_fma_f16 v29, v29, -0.5, v41
	v_add_f16_e32 v40, v43, v35
	v_add_f16_e32 v41, v35, v36
	;; [unrolled: 1-line block ×3, first 2 shown]
	v_sub_f16_e32 v35, v35, v36
	v_pack_b32_f16 v34, v37, v34
	v_fma_f16 v37, v41, -0.5, v43
	ds_write_b32 v106, v34 offset:360
	v_mad_legacy_u16 v34, v49, s15, v50
	v_pack_b32_f16 v36, v40, v53
	v_fma_f16 v40, v56, s0, v37
	v_fma_f16 v41, v35, s1, v29
	v_pack_b32_f16 v40, v40, v41
	v_lshlrev_b32_e32 v107, 2, v34
	ds_write2_b32 v107, v36, v40 offset1:45
	v_lshrrev_b32_e32 v34, 16, v46
	v_mul_f16_sdwa v40, v46, v23 dst_sel:DWORD dst_unused:UNUSED_PAD src0_sel:DWORD src1_sel:WORD_1
	v_mul_f16_sdwa v36, v34, v23 dst_sel:DWORD dst_unused:UNUSED_PAD src0_sel:DWORD src1_sel:WORD_1
	v_fma_f16 v34, v34, v23, v40
	v_fma_f16 v29, v35, s0, v29
	v_lshrrev_b32_e32 v35, 16, v47
	v_mul_f16_sdwa v40, v47, v22 dst_sel:DWORD dst_unused:UNUSED_PAD src0_sel:DWORD src1_sel:WORD_1
	v_fma_f16 v40, v35, v22, v40
	v_mul_f16_sdwa v35, v35, v22 dst_sel:DWORD dst_unused:UNUSED_PAD src0_sel:DWORD src1_sel:WORD_1
	v_fma_f16 v36, v46, v23, -v36
	v_fma_f16 v35, v47, v22, -v35
	v_lshrrev_b32_e32 v43, 16, v44
	v_add_f16_e32 v41, v35, v36
	v_add_f16_e32 v45, v43, v40
	v_fma_f16 v37, v56, s1, v37
	v_fma_f16 v41, v41, -0.5, v44
	v_add_f16_e32 v44, v44, v35
	v_add_f16_e32 v45, v45, v34
	v_sub_f16_e32 v46, v40, v34
	v_add_f16_e32 v34, v40, v34
	v_fma_f16 v34, v34, -0.5, v43
	v_add_f16_e32 v40, v44, v36
	v_sub_f16_e32 v35, v35, v36
	v_pack_b32_f16 v29, v37, v29
	ds_write_b32 v107, v29 offset:360
	v_mad_legacy_u16 v29, v51, s15, v52
	v_pack_b32_f16 v36, v40, v45
	v_fma_f16 v37, v46, s0, v41
	v_fma_f16 v40, v35, s1, v34
	v_pack_b32_f16 v37, v37, v40
	v_lshlrev_b32_e32 v108, 2, v29
	ds_write2_b32 v108, v36, v37 offset1:45
	v_lshrrev_b32_e32 v29, 16, v48
	v_mul_f16_sdwa v37, v48, v38 dst_sel:DWORD dst_unused:UNUSED_PAD src0_sel:DWORD src1_sel:WORD_1
	v_mul_f16_sdwa v36, v29, v38 dst_sel:DWORD dst_unused:UNUSED_PAD src0_sel:DWORD src1_sel:WORD_1
	v_fma_f16 v29, v29, v38, v37
	v_lshrrev_b32_e32 v37, 16, v105
	v_mul_f16_sdwa v40, v37, v39 dst_sel:DWORD dst_unused:UNUSED_PAD src0_sel:DWORD src1_sel:WORD_1
	v_fma_f16 v36, v48, v38, -v36
	v_fma_f16 v40, v105, v39, -v40
	v_mul_f16_sdwa v43, v105, v39 dst_sel:DWORD dst_unused:UNUSED_PAD src0_sel:DWORD src1_sel:WORD_1
	v_fma_f16 v37, v37, v39, v43
	v_fma_f16 v34, v35, s0, v34
	v_add_f16_e32 v35, v36, v40
	v_lshrrev_b32_e32 v43, 16, v28
	v_fma_f16 v41, v46, s1, v41
	v_fma_f16 v35, v35, -0.5, v28
	v_add_f16_e32 v28, v28, v36
	v_add_f16_e32 v44, v43, v29
	v_sub_f16_e32 v45, v29, v37
	v_add_f16_e32 v29, v29, v37
	v_fma_f16 v43, v29, -0.5, v43
	v_add_f16_e32 v28, v28, v40
	v_sub_f16_e32 v40, v36, v40
	v_pack_b32_f16 v29, v41, v34
	v_add_f16_e32 v44, v44, v37
	ds_write_b32 v108, v29 offset:360
	v_mad_legacy_u16 v29, v60, s15, v61
	v_fma_f16 v34, v45, s0, v35
	v_fma_f16 v36, v40, s1, v43
	v_pack_b32_f16 v28, v28, v44
	v_pack_b32_f16 v34, v34, v36
	v_lshlrev_b32_e32 v109, 2, v29
	ds_write2_b32 v109, v28, v34 offset1:45
	v_add_co_u32_e32 v28, vcc, s16, v81
	v_addc_co_u32_e64 v29, s[16:17], 0, -1, vcc
	v_cmp_gt_u16_e32 vcc, s15, v81
	v_cndmask_b32_e64 v37, v29, 0, vcc
	v_cndmask_b32_e32 v36, v28, v81, vcc
	v_lshlrev_b64 v[28:29], 3, v[36:37]
	v_fma_f16 v34, v45, s1, v35
	v_add_co_u32_e32 v28, vcc, s2, v28
	v_fma_f16 v35, v40, s0, v43
	v_addc_co_u32_e32 v29, vcc, v117, v29, vcc
	v_pack_b32_f16 v34, v34, v35
	ds_write_b32 v109, v34 offset:360
	s_waitcnt lgkmcnt(0)
	s_barrier
	global_load_dwordx2 v[28:29], v[28:29], off offset:520
	s_movk_i32 s15, 0x795d
	v_mul_u32_u24_sdwa v34, v55, s15 dst_sel:DWORD dst_unused:UNUSED_PAD src0_sel:WORD_0 src1_sel:DWORD
	v_lshrrev_b32_e32 v60, 22, v34
	v_mul_lo_u16_e32 v34, 0x87, v60
	v_sub_u16_e32 v61, v55, v34
	v_lshlrev_b16_e32 v34, 3, v61
	v_add_co_u32_e32 v34, vcc, s2, v34
	v_addc_co_u32_e32 v35, vcc, 0, v117, vcc
	global_load_dwordx2 v[34:35], v[34:35], off offset:520
	s_movk_i32 s16, 0x86
	v_mov_b32_e32 v37, 0x195
	v_cmp_lt_u16_e32 vcc, s16, v81
	v_cndmask_b32_e32 v37, 0, v37, vcc
	v_add_lshl_u32 v105, v36, v37, 2
	v_mul_u32_u24_sdwa v36, v54, s15 dst_sel:DWORD dst_unused:UNUSED_PAD src0_sel:WORD_0 src1_sel:DWORD
	v_lshrrev_b32_e32 v111, 22, v36
	v_mul_lo_u16_e32 v36, 0x87, v111
	v_sub_u16_e32 v112, v54, v36
	v_lshlrev_b16_e32 v36, 3, v112
	v_add_co_u32_e32 v43, vcc, s2, v36
	v_mul_u32_u24_sdwa v36, v63, s15 dst_sel:DWORD dst_unused:UNUSED_PAD src0_sel:WORD_0 src1_sel:DWORD
	v_lshrrev_b32_e32 v113, 22, v36
	v_mul_lo_u16_e32 v36, 0x87, v113
	v_sub_u16_e32 v114, v63, v36
	v_addc_co_u32_e32 v44, vcc, 0, v117, vcc
	v_lshlrev_b16_e32 v36, 3, v114
	v_add_co_u32_e32 v48, vcc, s2, v36
	v_addc_co_u32_e32 v49, vcc, 0, v117, vcc
	ds_read2_b32 v[46:47], v78 offset0:12 offset1:255
	global_load_dwordx2 v[36:37], v[43:44], off offset:520
	global_load_dwordx2 v[40:41], v[48:49], off offset:520
	ds_read2_b32 v[48:49], v76 offset0:6 offset1:249
	ds_read2_b32 v[50:51], v64 offset1:243
	s_movk_i32 s16, 0xff5e
	s_waitcnt lgkmcnt(2)
	v_lshrrev_b32_e32 v43, 16, v47
	v_lshlrev_b32_e32 v54, 3, v54
	s_waitcnt lgkmcnt(1)
	v_lshrrev_b32_e32 v45, 16, v48
	s_waitcnt lgkmcnt(0)
	v_lshrrev_b32_e32 v53, 16, v50
	s_waitcnt vmcnt(3)
	v_mul_f16_sdwa v44, v47, v28 dst_sel:DWORD dst_unused:UNUSED_PAD src0_sel:DWORD src1_sel:WORD_1
	v_mul_f16_sdwa v52, v48, v29 dst_sel:DWORD dst_unused:UNUSED_PAD src0_sel:DWORD src1_sel:WORD_1
	v_fma_f16 v44, v43, v28, v44
	v_fma_f16 v52, v45, v29, v52
	v_add_f16_e32 v56, v53, v44
	v_sub_f16_e32 v110, v44, v52
	v_add_f16_e32 v44, v44, v52
	v_fma_f16 v115, v44, -0.5, v53
	v_mul_f16_sdwa v43, v43, v28 dst_sel:DWORD dst_unused:UNUSED_PAD src0_sel:DWORD src1_sel:WORD_1
	v_mul_f16_sdwa v44, v45, v29 dst_sel:DWORD dst_unused:UNUSED_PAD src0_sel:DWORD src1_sel:WORD_1
	v_fma_f16 v43, v47, v28, -v43
	v_fma_f16 v44, v48, v29, -v44
	v_add_f16_e32 v47, v43, v44
	v_add_f16_e32 v45, v50, v43
	v_sub_f16_e32 v116, v43, v44
	v_fma_f16 v50, v47, -0.5, v50
	v_add_f16_e32 v45, v45, v44
	v_fma_f16 v43, v110, s0, v50
	v_fma_f16 v44, v116, s1, v115
	v_pack_b32_f16 v119, v43, v44
	v_mul_u32_u24_sdwa v43, v62, s15 dst_sel:DWORD dst_unused:UNUSED_PAD src0_sel:WORD_0 src1_sel:DWORD
	v_lshrrev_b32_e32 v120, 22, v43
	v_mul_lo_u16_e32 v43, 0x87, v120
	v_sub_u16_e32 v121, v62, v43
	v_lshlrev_b16_e32 v43, 3, v121
	v_add_co_u32_e32 v43, vcc, s2, v43
	v_add_f16_e32 v56, v56, v52
	v_addc_co_u32_e32 v44, vcc, 0, v117, vcc
	v_pack_b32_f16 v118, v45, v56
	global_load_dwordx2 v[44:45], v[43:44], off offset:520
	ds_read_b32 v43, v64 offset:13608
	ds_read2_b32 v[47:48], v85 offset0:2 offset1:245
	ds_read2_b32 v[52:53], v86 offset0:6 offset1:249
	;; [unrolled: 1-line block ×4, first 2 shown]
	s_waitcnt vmcnt(0) lgkmcnt(0)
	s_barrier
	ds_write2_b32 v105, v118, v119 offset1:135
	v_lshrrev_b32_e32 v118, 16, v49
	v_mul_f16_sdwa v119, v118, v35 dst_sel:DWORD dst_unused:UNUSED_PAD src0_sel:DWORD src1_sel:WORD_1
	v_fma_f16 v119, v49, v35, -v119
	v_mul_f16_sdwa v49, v49, v35 dst_sel:DWORD dst_unused:UNUSED_PAD src0_sel:DWORD src1_sel:WORD_1
	v_fma_f16 v50, v110, s1, v50
	v_fma_f16 v110, v116, s0, v115
	v_lshrrev_b32_e32 v115, 16, v47
	v_mul_f16_sdwa v116, v47, v34 dst_sel:DWORD dst_unused:UNUSED_PAD src0_sel:DWORD src1_sel:WORD_1
	v_fma_f16 v49, v118, v35, v49
	v_fma_f16 v116, v115, v34, v116
	v_mul_f16_sdwa v115, v115, v34 dst_sel:DWORD dst_unused:UNUSED_PAD src0_sel:DWORD src1_sel:WORD_1
	v_lshrrev_b32_e32 v118, 16, v51
	v_fma_f16 v47, v47, v34, -v115
	v_add_f16_e32 v122, v118, v116
	v_add_f16_e32 v115, v47, v119
	;; [unrolled: 1-line block ×3, first 2 shown]
	v_sub_f16_e32 v123, v116, v49
	v_add_f16_e32 v49, v116, v49
	v_fma_f16 v115, v115, -0.5, v51
	v_add_f16_e32 v51, v51, v47
	v_fma_f16 v49, v49, -0.5, v118
	v_sub_f16_e32 v47, v47, v119
	v_pack_b32_f16 v50, v50, v110
	s_movk_i32 s15, 0x195
	v_add_f16_e32 v51, v51, v119
	ds_write_b32 v105, v50 offset:1080
	v_mad_legacy_u16 v50, v60, s15, v61
	v_fma_f16 v60, v123, s0, v115
	v_fma_f16 v61, v47, s1, v49
	v_pack_b32_f16 v51, v51, v122
	v_pack_b32_f16 v60, v60, v61
	v_lshlrev_b32_e32 v110, 2, v50
	v_lshrrev_b32_e32 v50, 16, v48
	ds_write2_b32 v110, v51, v60 offset1:135
	v_mul_f16_sdwa v51, v50, v36 dst_sel:DWORD dst_unused:UNUSED_PAD src0_sel:DWORD src1_sel:WORD_1
	v_fma_f16 v51, v48, v36, -v51
	v_mul_f16_sdwa v48, v48, v36 dst_sel:DWORD dst_unused:UNUSED_PAD src0_sel:DWORD src1_sel:WORD_1
	v_fma_f16 v47, v47, s0, v49
	v_lshrrev_b32_e32 v49, 16, v56
	v_mul_f16_sdwa v60, v56, v37 dst_sel:DWORD dst_unused:UNUSED_PAD src0_sel:DWORD src1_sel:WORD_1
	v_fma_f16 v48, v50, v36, v48
	v_fma_f16 v60, v49, v37, v60
	v_lshrrev_b32_e32 v61, 16, v52
	v_mul_f16_sdwa v49, v49, v37 dst_sel:DWORD dst_unused:UNUSED_PAD src0_sel:DWORD src1_sel:WORD_1
	v_fma_f16 v50, v123, s1, v115
	v_add_f16_e32 v115, v61, v48
	v_fma_f16 v49, v56, v37, -v49
	v_add_f16_e32 v115, v115, v60
	v_sub_f16_e32 v116, v48, v60
	v_add_f16_e32 v48, v48, v60
	v_add_f16_e32 v56, v52, v51
	v_add_f16_e32 v60, v51, v49
	v_fma_f16 v48, v48, -0.5, v61
	v_add_f16_e32 v56, v56, v49
	v_sub_f16_e32 v49, v51, v49
	v_pack_b32_f16 v47, v50, v47
	v_fma_f16 v51, v60, -0.5, v52
	ds_write_b32 v110, v47 offset:1080
	v_mad_legacy_u16 v47, v111, s15, v112
	v_pack_b32_f16 v50, v56, v115
	v_fma_f16 v52, v116, s0, v51
	v_fma_f16 v56, v49, s1, v48
	v_pack_b32_f16 v52, v52, v56
	v_lshlrev_b32_e32 v112, 2, v47
	ds_write2_b32 v112, v50, v52 offset1:135
	v_lshrrev_b32_e32 v47, 16, v57
	v_mul_f16_sdwa v52, v57, v41 dst_sel:DWORD dst_unused:UNUSED_PAD src0_sel:DWORD src1_sel:WORD_1
	v_mul_f16_sdwa v50, v47, v41 dst_sel:DWORD dst_unused:UNUSED_PAD src0_sel:DWORD src1_sel:WORD_1
	v_fma_f16 v47, v47, v41, v52
	v_fma_f16 v48, v49, s0, v48
	v_lshrrev_b32_e32 v49, 16, v58
	v_mul_f16_sdwa v52, v58, v40 dst_sel:DWORD dst_unused:UNUSED_PAD src0_sel:DWORD src1_sel:WORD_1
	v_fma_f16 v52, v49, v40, v52
	v_mul_f16_sdwa v49, v49, v40 dst_sel:DWORD dst_unused:UNUSED_PAD src0_sel:DWORD src1_sel:WORD_1
	v_fma_f16 v50, v57, v41, -v50
	v_fma_f16 v49, v58, v40, -v49
	v_lshrrev_b32_e32 v57, 16, v53
	v_add_f16_e32 v56, v49, v50
	v_add_f16_e32 v58, v57, v52
	v_fma_f16 v51, v116, s1, v51
	v_fma_f16 v56, v56, -0.5, v53
	v_add_f16_e32 v53, v53, v49
	v_add_f16_e32 v58, v58, v47
	v_sub_f16_e32 v60, v52, v47
	v_add_f16_e32 v47, v52, v47
	v_fma_f16 v47, v47, -0.5, v57
	v_add_f16_e32 v52, v53, v50
	v_sub_f16_e32 v49, v49, v50
	v_pack_b32_f16 v48, v51, v48
	ds_write_b32 v112, v48 offset:1080
	v_mad_legacy_u16 v48, v113, s15, v114
	v_pack_b32_f16 v50, v52, v58
	v_fma_f16 v51, v60, s0, v56
	v_fma_f16 v52, v49, s1, v47
	v_pack_b32_f16 v51, v51, v52
	v_lshlrev_b32_e32 v111, 2, v48
	ds_write2_b32 v111, v50, v51 offset1:135
	v_lshrrev_b32_e32 v48, 16, v59
	v_mul_f16_sdwa v51, v59, v44 dst_sel:DWORD dst_unused:UNUSED_PAD src0_sel:DWORD src1_sel:WORD_1
	v_mul_f16_sdwa v50, v48, v44 dst_sel:DWORD dst_unused:UNUSED_PAD src0_sel:DWORD src1_sel:WORD_1
	v_fma_f16 v48, v48, v44, v51
	v_lshrrev_b32_e32 v51, 16, v43
	v_mul_f16_sdwa v52, v51, v45 dst_sel:DWORD dst_unused:UNUSED_PAD src0_sel:DWORD src1_sel:WORD_1
	v_fma_f16 v52, v43, v45, -v52
	v_mul_f16_sdwa v43, v43, v45 dst_sel:DWORD dst_unused:UNUSED_PAD src0_sel:DWORD src1_sel:WORD_1
	v_lshrrev_b32_e32 v53, 16, v46
	v_fma_f16 v50, v59, v44, -v50
	v_fma_f16 v43, v51, v45, v43
	v_fma_f16 v51, v60, s1, v56
	v_add_f16_e32 v56, v53, v48
	v_fma_f16 v47, v49, s0, v47
	v_add_f16_e32 v49, v50, v52
	v_add_f16_e32 v56, v56, v43
	v_sub_f16_e32 v58, v48, v43
	v_add_f16_e32 v43, v48, v43
	v_fma_f16 v49, v49, -0.5, v46
	v_add_f16_e32 v46, v46, v50
	v_fma_f16 v43, v43, -0.5, v53
	v_sub_f16_e32 v48, v50, v52
	v_pack_b32_f16 v47, v51, v47
	v_add_f16_e32 v46, v46, v52
	ds_write_b32 v111, v47 offset:1080
	v_mad_legacy_u16 v47, v120, s15, v121
	v_fma_f16 v50, v58, s0, v49
	v_fma_f16 v51, v48, s1, v43
	v_pack_b32_f16 v46, v46, v56
	v_pack_b32_f16 v50, v50, v51
	v_lshlrev_b32_e32 v113, 2, v47
	ds_write2_b32 v113, v46, v50 offset1:135
	v_add_co_u32_e32 v46, vcc, s16, v81
	v_addc_co_u32_e64 v47, s[16:17], 0, -1, vcc
	v_cmp_gt_u16_e32 vcc, s18, v81
	v_cndmask_b32_e32 v57, v47, v42, vcc
	v_fma_f16 v42, v58, s1, v49
	v_fma_f16 v43, v48, s0, v43
	v_pack_b32_f16 v42, v42, v43
	v_lshlrev_b32_e32 v60, 3, v81
	v_cndmask_b32_e32 v56, v46, v55, vcc
	ds_write_b32 v113, v42 offset:1080
	s_waitcnt lgkmcnt(0)
	s_barrier
	global_load_dwordx2 v[42:43], v60, s[2:3] offset:1600
	v_lshlrev_b64 v[46:47], 3, v[56:57]
	s_movk_i32 s16, 0x43a3
	v_add_co_u32_e32 v46, vcc, s2, v46
	v_addc_co_u32_e32 v47, vcc, v117, v47, vcc
	global_load_dwordx2 v[46:47], v[46:47], off offset:1600
	v_mul_u32_u24_sdwa v50, v63, s16 dst_sel:DWORD dst_unused:UNUSED_PAD src0_sel:WORD_0 src1_sel:DWORD
	v_sub_u16_sdwa v48, v63, v50 dst_sel:DWORD dst_unused:UNUSED_PAD src0_sel:DWORD src1_sel:WORD_1
	v_lshrrev_b16_e32 v51, 1, v48
	global_load_dwordx2 v[48:49], v60, s[2:3] offset:2248
	v_add_u16_sdwa v50, v51, v50 dst_sel:DWORD dst_unused:UNUSED_PAD src0_sel:DWORD src1_sel:WORD_1
	v_lshrrev_b16_e32 v61, 8, v50
	v_mul_lo_u16_e32 v50, 0x195, v61
	v_sub_u16_e32 v115, v63, v50
	v_lshlrev_b16_e32 v50, 3, v115
	v_mul_u32_u24_sdwa v52, v62, s16 dst_sel:DWORD dst_unused:UNUSED_PAD src0_sel:WORD_0 src1_sel:DWORD
	v_add_co_u32_e32 v50, vcc, s2, v50
	v_sub_u16_sdwa v53, v62, v52 dst_sel:DWORD dst_unused:UNUSED_PAD src0_sel:DWORD src1_sel:WORD_1
	v_addc_co_u32_e32 v51, vcc, 0, v117, vcc
	global_load_dwordx2 v[50:51], v[50:51], off offset:1600
	v_lshrrev_b16_e32 v53, 1, v53
	v_add_u16_sdwa v52, v53, v52 dst_sel:DWORD dst_unused:UNUSED_PAD src0_sel:DWORD src1_sel:WORD_1
	v_mul_lo_u16_sdwa v52, v52, s15 dst_sel:DWORD dst_unused:UNUSED_PAD src0_sel:BYTE_1 src1_sel:DWORD
	v_sub_u16_e32 v116, v62, v52
	v_lshlrev_b16_e32 v52, 3, v116
	v_add_co_u32_e32 v52, vcc, s2, v52
	v_addc_co_u32_e32 v53, vcc, 0, v117, vcc
	global_load_dwordx2 v[52:53], v[52:53], off offset:1600
	ds_read2_b32 v[57:58], v76 offset0:6 offset1:249
	s_movk_i32 s3, 0xa1
	v_mov_b32_e32 v59, 0x4bf
	v_cmp_lt_u16_e32 vcc, s3, v81
	v_cndmask_b32_e32 v59, 0, v59, vcc
	v_add_lshl_u32 v114, v56, v59, 2
	s_waitcnt lgkmcnt(0)
	v_lshrrev_b32_e32 v56, 16, v57
	s_movk_i32 s3, 0x4bf
	v_lshlrev_b32_e32 v116, 2, v116
	v_lshlrev_b32_e32 v55, 3, v55
	;; [unrolled: 1-line block ×3, first 2 shown]
	s_waitcnt vmcnt(4)
	v_mul_f16_sdwa v59, v57, v43 dst_sel:DWORD dst_unused:UNUSED_PAD src0_sel:DWORD src1_sel:WORD_1
	v_fma_f16 v118, v56, v43, v59
	v_mul_f16_sdwa v56, v56, v43 dst_sel:DWORD dst_unused:UNUSED_PAD src0_sel:DWORD src1_sel:WORD_1
	v_fma_f16 v119, v57, v43, -v56
	ds_read2_b32 v[56:57], v85 offset0:2 offset1:245
	v_lshrrev_b32_e32 v59, 16, v58
	s_waitcnt vmcnt(3)
	v_mul_f16_sdwa v120, v59, v47 dst_sel:DWORD dst_unused:UNUSED_PAD src0_sel:DWORD src1_sel:WORD_1
	v_fma_f16 v120, v58, v47, -v120
	v_mul_f16_sdwa v58, v58, v47 dst_sel:DWORD dst_unused:UNUSED_PAD src0_sel:DWORD src1_sel:WORD_1
	v_fma_f16 v121, v59, v47, v58
	s_waitcnt lgkmcnt(0)
	v_lshrrev_b32_e32 v58, 16, v56
	v_mul_f16_sdwa v59, v56, v46 dst_sel:DWORD dst_unused:UNUSED_PAD src0_sel:DWORD src1_sel:WORD_1
	v_fma_f16 v122, v58, v46, v59
	v_mul_f16_sdwa v58, v58, v46 dst_sel:DWORD dst_unused:UNUSED_PAD src0_sel:DWORD src1_sel:WORD_1
	v_fma_f16 v123, v56, v46, -v58
	ds_read2_b32 v[58:59], v83 offset0:4 offset1:247
	v_lshrrev_b32_e32 v56, 16, v57
	s_waitcnt vmcnt(2)
	v_mul_f16_sdwa v124, v56, v48 dst_sel:DWORD dst_unused:UNUSED_PAD src0_sel:DWORD src1_sel:WORD_1
	v_fma_f16 v124, v57, v48, -v124
	v_mul_f16_sdwa v57, v57, v48 dst_sel:DWORD dst_unused:UNUSED_PAD src0_sel:DWORD src1_sel:WORD_1
	v_fma_f16 v125, v56, v48, v57
	s_waitcnt lgkmcnt(0)
	v_lshrrev_b32_e32 v56, 16, v58
	;; [unrolled: 13-line block ×3, first 2 shown]
	v_mul_f16_sdwa v59, v56, v50 dst_sel:DWORD dst_unused:UNUSED_PAD src0_sel:DWORD src1_sel:WORD_1
	v_fma_f16 v130, v58, v50, v59
	v_mul_f16_sdwa v58, v58, v50 dst_sel:DWORD dst_unused:UNUSED_PAD src0_sel:DWORD src1_sel:WORD_1
	v_fma_f16 v131, v56, v50, -v58
	ds_read_b32 v58, v64 offset:13608
	v_lshrrev_b32_e32 v56, 16, v57
	s_waitcnt vmcnt(0)
	v_mul_f16_sdwa v59, v56, v52 dst_sel:DWORD dst_unused:UNUSED_PAD src0_sel:DWORD src1_sel:WORD_1
	v_fma_f16 v132, v57, v52, -v59
	v_mul_f16_sdwa v57, v57, v52 dst_sel:DWORD dst_unused:UNUSED_PAD src0_sel:DWORD src1_sel:WORD_1
	v_fma_f16 v133, v56, v52, v57
	ds_read2_b32 v[56:57], v78 offset0:12 offset1:255
	s_waitcnt lgkmcnt(1)
	v_lshrrev_b32_e32 v59, 16, v58
	v_mul_f16_sdwa v134, v59, v53 dst_sel:DWORD dst_unused:UNUSED_PAD src0_sel:DWORD src1_sel:WORD_1
	v_fma_f16 v134, v58, v53, -v134
	v_mul_f16_sdwa v58, v58, v53 dst_sel:DWORD dst_unused:UNUSED_PAD src0_sel:DWORD src1_sel:WORD_1
	v_fma_f16 v135, v59, v53, v58
	ds_read2_b32 v[58:59], v64 offset1:243
	s_waitcnt lgkmcnt(1)
	v_lshrrev_b32_e32 v136, 16, v57
	v_mul_f16_sdwa v137, v57, v42 dst_sel:DWORD dst_unused:UNUSED_PAD src0_sel:DWORD src1_sel:WORD_1
	v_fma_f16 v137, v136, v42, v137
	v_mul_f16_sdwa v136, v136, v42 dst_sel:DWORD dst_unused:UNUSED_PAD src0_sel:DWORD src1_sel:WORD_1
	v_fma_f16 v57, v57, v42, -v136
	v_add_f16_e32 v136, v57, v119
	s_waitcnt lgkmcnt(0)
	v_fma_f16 v136, v136, -0.5, v58
	v_sub_f16_e32 v138, v137, v118
	v_fma_f16 v139, v138, s0, v136
	v_fma_f16 v136, v138, s1, v136
	v_lshrrev_b32_e32 v138, 16, v58
	v_add_f16_e32 v140, v138, v137
	v_add_f16_e32 v140, v140, v118
	;; [unrolled: 1-line block ×3, first 2 shown]
	v_fma_f16 v118, v118, -0.5, v138
	v_add_f16_e32 v58, v58, v57
	v_sub_f16_e32 v57, v57, v119
	v_add_f16_e32 v137, v58, v119
	v_fma_f16 v119, v57, s1, v118
	v_fma_f16 v118, v57, s0, v118
	v_add_f16_e32 v57, v123, v120
	v_fma_f16 v57, v57, -0.5, v59
	v_lshrrev_b32_e32 v58, 16, v59
	v_sub_f16_e32 v138, v122, v121
	v_fma_f16 v141, v138, s0, v57
	v_fma_f16 v138, v138, s1, v57
	v_add_f16_e32 v57, v58, v122
	v_add_f16_e32 v142, v57, v121
	;; [unrolled: 1-line block ×3, first 2 shown]
	v_fma_f16 v121, v57, -0.5, v58
	ds_read2_b32 v[57:58], v86 offset0:6 offset1:249
	v_add_f16_e32 v59, v59, v123
	v_add_f16_e32 v59, v59, v120
	v_sub_f16_e32 v120, v123, v120
	v_fma_f16 v122, v120, s1, v121
	v_fma_f16 v120, v120, s0, v121
	v_add_f16_e32 v121, v124, v127
	s_waitcnt lgkmcnt(0)
	v_fma_f16 v121, v121, -0.5, v57
	v_sub_f16_e32 v123, v125, v126
	v_fma_f16 v143, v123, s0, v121
	v_fma_f16 v121, v123, s1, v121
	v_lshrrev_b32_e32 v123, 16, v57
	v_add_f16_e32 v144, v123, v125
	v_add_f16_e32 v125, v125, v126
	v_fma_f16 v123, v125, -0.5, v123
	v_add_f16_e32 v57, v57, v124
	v_sub_f16_e32 v124, v124, v127
	v_fma_f16 v125, v124, s1, v123
	v_fma_f16 v123, v124, s0, v123
	v_add_f16_e32 v124, v131, v128
	v_add_f16_e32 v144, v144, v126
	;; [unrolled: 1-line block ×3, first 2 shown]
	v_fma_f16 v124, v124, -0.5, v58
	v_lshrrev_b32_e32 v126, 16, v58
	v_sub_f16_e32 v127, v130, v129
	v_fma_f16 v145, v127, s0, v124
	v_fma_f16 v124, v127, s1, v124
	v_add_f16_e32 v127, v126, v130
	v_add_f16_e32 v58, v58, v131
	v_add_f16_e32 v127, v127, v129
	v_add_f16_e32 v129, v130, v129
	v_fma_f16 v126, v129, -0.5, v126
	v_add_f16_e32 v58, v58, v128
	v_sub_f16_e32 v128, v131, v128
	v_fma_f16 v129, v128, s1, v126
	v_fma_f16 v126, v128, s0, v126
	v_add_f16_e32 v128, v132, v134
	v_fma_f16 v128, v128, -0.5, v56
	v_lshrrev_b32_e32 v130, 16, v56
	v_sub_f16_e32 v131, v133, v135
	v_fma_f16 v146, v131, s0, v128
	v_fma_f16 v128, v131, s1, v128
	v_add_f16_e32 v131, v130, v133
	v_add_f16_e32 v133, v133, v135
	;; [unrolled: 1-line block ×3, first 2 shown]
	v_fma_f16 v130, v133, -0.5, v130
	v_sub_f16_e32 v132, v132, v134
	v_fma_f16 v133, v132, s1, v130
	v_fma_f16 v130, v132, s0, v130
	v_pack_b32_f16 v132, v137, v140
	v_pack_b32_f16 v119, v139, v119
	;; [unrolled: 1-line block ×4, first 2 shown]
	s_barrier
	ds_write_b32 v64, v132
	ds_write_b32 v64, v119 offset:1620
	ds_write_b32 v64, v118 offset:3240
	ds_write_b32 v114, v59
	v_pack_b32_f16 v59, v141, v122
	ds_write_b32 v114, v59 offset:1620
	v_pack_b32_f16 v59, v138, v120
	v_pack_b32_f16 v57, v57, v144
	ds_write_b32 v114, v59 offset:3240
	ds_write_b32 v64, v57 offset:5184
	v_pack_b32_f16 v57, v143, v125
	ds_write_b32 v64, v57 offset:6804
	v_pack_b32_f16 v57, v121, v123
	ds_write_b32 v64, v57 offset:8424
	v_mad_legacy_u16 v57, v61, s3, v115
	v_add_f16_e32 v131, v131, v135
	v_add_f16_e32 v56, v56, v134
	v_lshlrev_b32_e32 v115, 2, v57
	v_pack_b32_f16 v57, v145, v129
	v_pack_b32_f16 v58, v58, v127
	ds_write_b32 v115, v57 offset:1620
	v_pack_b32_f16 v57, v124, v126
	v_pack_b32_f16 v56, v56, v131
	ds_write_b32 v115, v58
	ds_write_b32 v115, v57 offset:3240
	ds_write_b32 v116, v56 offset:9720
	v_pack_b32_f16 v56, v146, v133
	ds_write_b32 v116, v56 offset:11340
	v_pack_b32_f16 v56, v128, v130
	ds_write_b32 v116, v56 offset:12960
	v_add_co_u32_e32 v56, vcc, s2, v60
	v_addc_co_u32_e32 v57, vcc, 0, v117, vcc
	v_add_co_u32_e32 v56, vcc, s14, v56
	v_addc_co_u32_e32 v57, vcc, 0, v57, vcc
	v_add_co_u32_e32 v55, vcc, s2, v55
	s_waitcnt lgkmcnt(0)
	s_barrier
	global_load_dwordx2 v[60:61], v[56:57], off offset:744
	v_addc_co_u32_e32 v56, vcc, 0, v117, vcc
	v_add_co_u32_e32 v55, vcc, s14, v55
	v_addc_co_u32_e32 v56, vcc, 0, v56, vcc
	global_load_dwordx2 v[58:59], v[55:56], off offset:744
	ds_read2_b32 v[118:119], v76 offset0:6 offset1:249
	v_add_co_u32_e32 v54, vcc, s2, v54
	v_addc_co_u32_e32 v55, vcc, 0, v117, vcc
	v_add_co_u32_e32 v54, vcc, s14, v54
	v_addc_co_u32_e32 v55, vcc, 0, v55, vcc
	global_load_dwordx2 v[56:57], v[54:55], off offset:744
	v_lshlrev_b32_e32 v54, 3, v63
	s_waitcnt lgkmcnt(0)
	v_lshrrev_b32_e32 v63, 16, v118
	v_add_co_u32_e32 v54, vcc, s2, v54
	v_addc_co_u32_e32 v55, vcc, 0, v117, vcc
	v_add_co_u32_e32 v54, vcc, s14, v54
	v_addc_co_u32_e32 v55, vcc, 0, v55, vcc
	global_load_dwordx2 v[54:55], v[54:55], off offset:744
	v_add_co_u32_e32 v62, vcc, s2, v62
	s_movk_i32 s2, 0x38f4
	s_waitcnt vmcnt(3)
	v_mul_f16_sdwa v120, v118, v61 dst_sel:DWORD dst_unused:UNUSED_PAD src0_sel:DWORD src1_sel:WORD_1
	v_fma_f16 v122, v63, v61, v120
	v_mul_f16_sdwa v63, v63, v61 dst_sel:DWORD dst_unused:UNUSED_PAD src0_sel:DWORD src1_sel:WORD_1
	ds_read2_b32 v[120:121], v78 offset0:12 offset1:255
	v_fma_f16 v63, v118, v61, -v63
	v_lshrrev_b32_e32 v118, 16, v119
	s_waitcnt vmcnt(2)
	v_mul_f16_sdwa v123, v118, v59 dst_sel:DWORD dst_unused:UNUSED_PAD src0_sel:DWORD src1_sel:WORD_1
	v_fma_f16 v127, v119, v59, -v123
	v_mul_f16_sdwa v119, v119, v59 dst_sel:DWORD dst_unused:UNUSED_PAD src0_sel:DWORD src1_sel:WORD_1
	v_fma_f16 v128, v118, v59, v119
	ds_read2_b32 v[118:119], v64 offset1:243
	s_waitcnt lgkmcnt(1)
	v_lshrrev_b32_e32 v123, 16, v121
	v_mul_f16_sdwa v124, v121, v60 dst_sel:DWORD dst_unused:UNUSED_PAD src0_sel:DWORD src1_sel:WORD_1
	v_fma_f16 v124, v123, v60, v124
	v_mul_f16_sdwa v123, v123, v60 dst_sel:DWORD dst_unused:UNUSED_PAD src0_sel:DWORD src1_sel:WORD_1
	v_fma_f16 v123, v121, v60, -v123
	v_add_f16_e32 v121, v123, v63
	s_waitcnt lgkmcnt(0)
	v_fma_f16 v121, v121, -0.5, v118
	v_sub_f16_e32 v125, v124, v122
	v_fma_f16 v126, v125, s0, v121
	v_fma_f16 v129, v125, s1, v121
	v_lshrrev_b32_e32 v121, 16, v118
	v_add_f16_e32 v125, v121, v124
	v_add_f16_e32 v125, v125, v122
	;; [unrolled: 1-line block ×3, first 2 shown]
	v_fma_f16 v124, v122, -0.5, v121
	ds_read2_b32 v[121:122], v85 offset0:2 offset1:245
	v_add_f16_e32 v118, v118, v123
	v_add_f16_e32 v118, v118, v63
	v_sub_f16_e32 v63, v123, v63
	v_fma_f16 v123, v63, s1, v124
	v_fma_f16 v130, v63, s0, v124
	s_waitcnt lgkmcnt(0)
	v_lshrrev_b32_e32 v63, 16, v121
	v_mul_f16_sdwa v124, v121, v58 dst_sel:DWORD dst_unused:UNUSED_PAD src0_sel:DWORD src1_sel:WORD_1
	v_fma_f16 v131, v63, v58, v124
	v_mul_f16_sdwa v63, v63, v58 dst_sel:DWORD dst_unused:UNUSED_PAD src0_sel:DWORD src1_sel:WORD_1
	v_fma_f16 v121, v121, v58, -v63
	v_addc_co_u32_e32 v63, vcc, 0, v117, vcc
	v_add_co_u32_e32 v62, vcc, s14, v62
	v_addc_co_u32_e32 v63, vcc, 0, v63, vcc
	global_load_dwordx2 v[62:63], v[62:63], off offset:744
	v_lshrrev_b32_e32 v132, 16, v119
	v_add_f16_e32 v117, v121, v127
	v_add_f16_e32 v133, v119, v121
	v_pack_b32_f16 v129, v129, v130
	v_add_f16_e32 v130, v132, v131
	v_fma_f16 v117, v117, -0.5, v119
	v_pack_b32_f16 v134, v118, v125
	v_pack_b32_f16 v135, v126, v123
	ds_read2_b32 v[118:119], v86 offset0:6 offset1:249
	ds_read2_b32 v[123:124], v83 offset0:4 offset1:247
	;; [unrolled: 1-line block ×3, first 2 shown]
	ds_write_b32 v64, v129 offset:9720
	v_add_f16_e32 v129, v133, v127
	v_add_f16_e32 v130, v130, v128
	v_pack_b32_f16 v129, v129, v130
	ds_write_b32 v64, v135 offset:4860
	ds_read_b32 v130, v64 offset:13608
	ds_write2_b32 v64, v134, v129 offset1:243
	v_lshrrev_b32_e32 v129, 16, v122
	s_waitcnt vmcnt(2)
	v_mul_f16_sdwa v133, v129, v56 dst_sel:DWORD dst_unused:UNUSED_PAD src0_sel:DWORD src1_sel:WORD_1
	v_fma_f16 v133, v122, v56, -v133
	v_mul_f16_sdwa v122, v122, v56 dst_sel:DWORD dst_unused:UNUSED_PAD src0_sel:DWORD src1_sel:WORD_1
	v_fma_f16 v122, v129, v56, v122
	v_sub_f16_e32 v129, v131, v128
	v_add_f16_e32 v128, v131, v128
	v_fma_f16 v128, v128, -0.5, v132
	v_sub_f16_e32 v121, v121, v127
	v_fma_f16 v127, v129, s0, v117
	v_fma_f16 v131, v121, s1, v128
	v_pack_b32_f16 v127, v127, v131
	s_waitcnt lgkmcnt(5)
	v_lshrrev_b32_e32 v131, 16, v123
	v_mul_f16_sdwa v132, v123, v57 dst_sel:DWORD dst_unused:UNUSED_PAD src0_sel:DWORD src1_sel:WORD_1
	v_fma_f16 v132, v131, v57, v132
	v_mul_f16_sdwa v131, v131, v57 dst_sel:DWORD dst_unused:UNUSED_PAD src0_sel:DWORD src1_sel:WORD_1
	v_fma_f16 v123, v123, v57, -v131
	v_add_f16_e32 v131, v133, v123
	v_lshrrev_b32_e32 v134, 16, v118
	v_add_f16_e32 v135, v122, v132
	v_fma_f16 v131, v131, -0.5, v118
	v_fma_f16 v135, v135, -0.5, v134
	v_sub_f16_e32 v136, v122, v132
	v_sub_f16_e32 v138, v133, v123
	v_fma_f16 v137, v136, s0, v131
	v_fma_f16 v139, v138, s1, v135
	v_pack_b32_f16 v137, v137, v139
	ds_write2_b32 v85, v127, v137 offset0:2 offset1:245
	v_fma_f16 v117, v129, s1, v117
	v_fma_f16 v121, v121, s0, v128
	;; [unrolled: 1-line block ×4, first 2 shown]
	v_pack_b32_f16 v121, v117, v121
	v_pack_b32_f16 v127, v127, v128
	v_add_u32_e32 v117, 0x29c0, v64
	ds_write2_b32 v117, v121, v127 offset0:1 offset1:244
	v_lshrrev_b32_e32 v121, 16, v124
	s_waitcnt vmcnt(1)
	v_mul_f16_sdwa v127, v121, v55 dst_sel:DWORD dst_unused:UNUSED_PAD src0_sel:DWORD src1_sel:WORD_1
	v_fma_f16 v127, v124, v55, -v127
	v_mul_f16_sdwa v124, v124, v55 dst_sel:DWORD dst_unused:UNUSED_PAD src0_sel:DWORD src1_sel:WORD_1
	v_add_f16_e32 v118, v118, v133
	v_fma_f16 v121, v121, v55, v124
	v_add_f16_e32 v118, v118, v123
	s_waitcnt lgkmcnt(6)
	v_lshrrev_b32_e32 v123, 16, v125
	v_mul_f16_sdwa v124, v125, v54 dst_sel:DWORD dst_unused:UNUSED_PAD src0_sel:DWORD src1_sel:WORD_1
	v_fma_f16 v124, v123, v54, v124
	v_mul_f16_sdwa v123, v123, v54 dst_sel:DWORD dst_unused:UNUSED_PAD src0_sel:DWORD src1_sel:WORD_1
	v_add_f16_e32 v122, v134, v122
	v_fma_f16 v123, v125, v54, -v123
	v_add_f16_e32 v122, v122, v132
	v_add_f16_e32 v125, v123, v127
	v_lshrrev_b32_e32 v128, 16, v119
	v_fma_f16 v125, v125, -0.5, v119
	v_add_f16_e32 v119, v119, v123
	v_pack_b32_f16 v118, v118, v122
	v_add_f16_e32 v122, v128, v124
	v_add_f16_e32 v119, v119, v127
	v_add_f16_e32 v122, v122, v121
	v_pack_b32_f16 v119, v119, v122
	ds_write2_b32 v86, v118, v119 offset0:6 offset1:249
	v_lshrrev_b32_e32 v118, 16, v126
	v_sub_f16_e32 v123, v123, v127
	v_lshrrev_b32_e32 v127, 16, v120
	s_waitcnt vmcnt(0)
	v_mul_f16_sdwa v122, v126, v62 dst_sel:DWORD dst_unused:UNUSED_PAD src0_sel:DWORD src1_sel:WORD_1
	v_mul_f16_sdwa v119, v118, v62 dst_sel:DWORD dst_unused:UNUSED_PAD src0_sel:DWORD src1_sel:WORD_1
	v_fma_f16 v118, v118, v62, v122
	s_waitcnt lgkmcnt(4)
	v_lshrrev_b32_e32 v122, 16, v130
	v_mul_f16_sdwa v129, v130, v63 dst_sel:DWORD dst_unused:UNUSED_PAD src0_sel:DWORD src1_sel:WORD_1
	v_fma_f16 v119, v126, v62, -v119
	v_mul_f16_sdwa v126, v122, v63 dst_sel:DWORD dst_unused:UNUSED_PAD src0_sel:DWORD src1_sel:WORD_1
	v_fma_f16 v122, v122, v63, v129
	v_sub_f16_e32 v129, v124, v121
	v_add_f16_e32 v121, v124, v121
	v_fma_f16 v126, v130, v63, -v126
	v_fma_f16 v121, v121, -0.5, v128
	v_fma_f16 v124, v123, s1, v121
	v_fma_f16 v121, v123, s0, v121
	v_add_f16_e32 v123, v119, v126
	v_fma_f16 v123, v123, -0.5, v120
	v_add_f16_e32 v120, v120, v119
	v_add_f16_e32 v128, v127, v118
	v_fma_f16 v130, v129, s0, v125
	v_fma_f16 v125, v129, s1, v125
	v_add_f16_e32 v128, v128, v122
	v_sub_f16_e32 v129, v118, v122
	v_add_f16_e32 v118, v118, v122
	v_add_f16_e32 v120, v120, v126
	v_fma_f16 v118, v118, -0.5, v127
	v_sub_f16_e32 v119, v119, v126
	v_pack_b32_f16 v121, v125, v121
	v_pack_b32_f16 v120, v120, v128
	ds_write_b32 v64, v121 offset:12636
	ds_write_b32 v64, v120 offset:3888
	v_fma_f16 v120, v129, s0, v123
	v_fma_f16 v121, v119, s1, v118
	v_pack_b32_f16 v122, v130, v124
	v_pack_b32_f16 v120, v120, v121
	ds_write2_b32 v84, v122, v120 offset0:8 offset1:251
	v_fma_f16 v120, v129, s1, v123
	v_fma_f16 v118, v119, s0, v118
	v_pack_b32_f16 v118, v120, v118
	ds_write_b32 v64, v118 offset:13608
	s_waitcnt lgkmcnt(0)
	s_barrier
	global_load_dword v122, v[32:33], off offset:2292
	v_add_co_u32_e32 v32, vcc, s2, v87
	v_addc_co_u32_e32 v33, vcc, 0, v88, vcc
	global_load_dword v123, v[32:33], off offset:2916
	global_load_dword v124, v[32:33], off offset:3888
	s_movk_i32 s2, 0x5000
	v_add_co_u32_e32 v118, vcc, s2, v87
	v_addc_co_u32_e32 v119, vcc, 0, v88, vcc
	global_load_dword v125, v[118:119], off offset:2848
	global_load_dword v126, v[118:119], off offset:3820
	;; [unrolled: 1-line block ×3, first 2 shown]
	s_movk_i32 s2, 0x4000
	v_add_co_u32_e32 v120, vcc, s2, v87
	v_addc_co_u32_e32 v121, vcc, 0, v88, vcc
	global_load_dword v128, v[120:121], off offset:3056
	global_load_dword v129, v[120:121], off offset:4028
	;; [unrolled: 1-line block ×4, first 2 shown]
	s_movk_i32 s2, 0x6000
	v_add_co_u32_e32 v87, vcc, s2, v87
	v_addc_co_u32_e32 v88, vcc, 0, v88, vcc
	ds_read2_b32 v[32:33], v64 offset1:243
	global_load_dword v132, v[87:88], off offset:3612
	global_load_dword v133, v[87:88], off offset:696
	;; [unrolled: 1-line block ×5, first 2 shown]
	s_mov_b32 s2, 0xdc4fce8b
	s_mov_b32 s3, 0x3f31fc10
	s_waitcnt lgkmcnt(0)
	v_lshrrev_b32_e32 v118, 16, v32
	s_waitcnt vmcnt(14)
	v_mul_f16_sdwa v119, v32, v122 dst_sel:DWORD dst_unused:UNUSED_PAD src0_sel:DWORD src1_sel:WORD_1
	v_fma_f16 v119, v118, v122, v119
	v_mul_f16_sdwa v118, v118, v122 dst_sel:DWORD dst_unused:UNUSED_PAD src0_sel:DWORD src1_sel:WORD_1
	v_fma_f16 v32, v32, v122, -v118
	v_pack_b32_f16 v32, v32, v119
	ds_write_b32 v64, v32
	ds_read2_b32 v[118:119], v86 offset0:6 offset1:249
	ds_read2_b32 v[87:88], v78 offset0:12 offset1:255
	s_waitcnt lgkmcnt(1)
	v_lshrrev_b32_e32 v32, 16, v119
	s_waitcnt vmcnt(13)
	v_mul_f16_sdwa v120, v119, v123 dst_sel:DWORD dst_unused:UNUSED_PAD src0_sel:DWORD src1_sel:WORD_1
	v_fma_f16 v120, v32, v123, v120
	v_mul_f16_sdwa v32, v32, v123 dst_sel:DWORD dst_unused:UNUSED_PAD src0_sel:DWORD src1_sel:WORD_1
	v_fma_f16 v32, v119, v123, -v32
	v_pack_b32_f16 v32, v32, v120
	s_waitcnt lgkmcnt(0)
	v_lshrrev_b32_e32 v119, 16, v87
	s_waitcnt vmcnt(12)
	v_mul_f16_sdwa v120, v87, v124 dst_sel:DWORD dst_unused:UNUSED_PAD src0_sel:DWORD src1_sel:WORD_1
	v_fma_f16 v121, v119, v124, v120
	v_mul_f16_sdwa v122, v119, v124 dst_sel:DWORD dst_unused:UNUSED_PAD src0_sel:DWORD src1_sel:WORD_1
	ds_read2_b32 v[119:120], v84 offset0:8 offset1:251
	v_fma_f16 v87, v87, v124, -v122
	v_pack_b32_f16 v87, v87, v121
	v_add_u32_e32 v121, 0xb40, v64
	ds_write2_b32 v121, v32, v87 offset0:9 offset1:252
	ds_read2_b32 v[121:122], v76 offset0:6 offset1:249
	s_waitcnt lgkmcnt(2)
	v_lshrrev_b32_e32 v32, 16, v120
	s_waitcnt vmcnt(11)
	v_mul_f16_sdwa v87, v120, v125 dst_sel:DWORD dst_unused:UNUSED_PAD src0_sel:DWORD src1_sel:WORD_1
	v_fma_f16 v87, v32, v125, v87
	v_mul_f16_sdwa v32, v32, v125 dst_sel:DWORD dst_unused:UNUSED_PAD src0_sel:DWORD src1_sel:WORD_1
	v_fma_f16 v32, v120, v125, -v32
	v_pack_b32_f16 v32, v32, v87
	s_waitcnt lgkmcnt(0)
	v_lshrrev_b32_e32 v87, 16, v121
	s_waitcnt vmcnt(10)
	v_mul_f16_sdwa v120, v121, v126 dst_sel:DWORD dst_unused:UNUSED_PAD src0_sel:DWORD src1_sel:WORD_1
	v_fma_f16 v120, v87, v126, v120
	v_mul_f16_sdwa v87, v87, v126 dst_sel:DWORD dst_unused:UNUSED_PAD src0_sel:DWORD src1_sel:WORD_1
	v_fma_f16 v87, v121, v126, -v87
	v_pack_b32_f16 v87, v87, v120
	v_add_u32_e32 v120, 0x2200, v64
	ds_write2_b32 v120, v32, v87 offset0:11 offset1:254
	v_lshrrev_b32_e32 v32, 16, v33
	s_waitcnt vmcnt(9)
	v_mul_f16_sdwa v87, v32, v127 dst_sel:DWORD dst_unused:UNUSED_PAD src0_sel:DWORD src1_sel:WORD_1
	v_fma_f16 v87, v33, v127, -v87
	v_mul_f16_sdwa v33, v33, v127 dst_sel:DWORD dst_unused:UNUSED_PAD src0_sel:DWORD src1_sel:WORD_1
	v_fma_f16 v32, v32, v127, v33
	v_lshrrev_b32_e32 v33, 16, v118
	s_waitcnt vmcnt(6)
	v_mul_f16_sdwa v120, v33, v130 dst_sel:DWORD dst_unused:UNUSED_PAD src0_sel:DWORD src1_sel:WORD_1
	v_fma_f16 v120, v118, v130, -v120
	v_mul_f16_sdwa v118, v118, v130 dst_sel:DWORD dst_unused:UNUSED_PAD src0_sel:DWORD src1_sel:WORD_1
	v_fma_f16 v33, v33, v130, v118
	v_pack_b32_f16 v32, v87, v32
	v_pack_b32_f16 v33, v120, v33
	v_add_u32_e32 v87, 0x3c0, v64
	ds_write2_b32 v87, v32, v33 offset0:3 offset1:246
	ds_read2_b32 v[32:33], v85 offset0:2 offset1:245
	v_lshrrev_b32_e32 v87, 16, v88
	v_mul_f16_sdwa v118, v87, v128 dst_sel:DWORD dst_unused:UNUSED_PAD src0_sel:DWORD src1_sel:WORD_1
	v_fma_f16 v118, v88, v128, -v118
	v_mul_f16_sdwa v88, v88, v128 dst_sel:DWORD dst_unused:UNUSED_PAD src0_sel:DWORD src1_sel:WORD_1
	v_fma_f16 v87, v87, v128, v88
	s_waitcnt lgkmcnt(0)
	v_lshrrev_b32_e32 v88, 16, v32
	v_mul_f16_sdwa v120, v32, v129 dst_sel:DWORD dst_unused:UNUSED_PAD src0_sel:DWORD src1_sel:WORD_1
	v_fma_f16 v120, v88, v129, v120
	v_mul_f16_sdwa v88, v88, v129 dst_sel:DWORD dst_unused:UNUSED_PAD src0_sel:DWORD src1_sel:WORD_1
	v_fma_f16 v32, v32, v129, -v88
	v_pack_b32_f16 v32, v32, v120
	v_pack_b32_f16 v87, v118, v87
	v_add_u32_e32 v88, 0x12e0, v64
	ds_write2_b32 v88, v87, v32 offset0:7 offset1:250
	v_lshrrev_b32_e32 v32, 16, v33
	s_waitcnt vmcnt(5)
	v_mul_f16_sdwa v87, v32, v131 dst_sel:DWORD dst_unused:UNUSED_PAD src0_sel:DWORD src1_sel:WORD_1
	v_fma_f16 v87, v33, v131, -v87
	v_mul_f16_sdwa v33, v33, v131 dst_sel:DWORD dst_unused:UNUSED_PAD src0_sel:DWORD src1_sel:WORD_1
	v_fma_f16 v32, v32, v131, v33
	v_lshrrev_b32_e32 v33, 16, v119
	s_waitcnt vmcnt(1)
	v_mul_f16_sdwa v88, v33, v135 dst_sel:DWORD dst_unused:UNUSED_PAD src0_sel:DWORD src1_sel:WORD_1
	v_mul_f16_sdwa v118, v119, v135 dst_sel:DWORD dst_unused:UNUSED_PAD src0_sel:DWORD src1_sel:WORD_1
	v_fma_f16 v88, v119, v135, -v88
	v_fma_f16 v33, v33, v135, v118
	ds_read_b32 v119, v64 offset:13608
	v_pack_b32_f16 v32, v87, v32
	v_pack_b32_f16 v33, v88, v33
	ds_write2_b32 v95, v32, v33 offset0:5 offset1:248
	ds_read2_b32 v[32:33], v83 offset0:4 offset1:247
	s_waitcnt lgkmcnt(2)
	v_lshrrev_b32_e32 v87, 16, v119
	v_mul_f16_sdwa v95, v119, v132 dst_sel:DWORD dst_unused:UNUSED_PAD src0_sel:DWORD src1_sel:WORD_1
	v_mul_f16_sdwa v88, v87, v132 dst_sel:DWORD dst_unused:UNUSED_PAD src0_sel:DWORD src1_sel:WORD_1
	v_fma_f16 v87, v87, v132, v95
	s_waitcnt lgkmcnt(0)
	v_lshrrev_b32_e32 v95, 16, v33
	s_waitcnt vmcnt(0)
	v_mul_f16_sdwa v118, v33, v136 dst_sel:DWORD dst_unused:UNUSED_PAD src0_sel:DWORD src1_sel:WORD_1
	v_fma_f16 v118, v95, v136, v118
	v_mul_f16_sdwa v95, v95, v136 dst_sel:DWORD dst_unused:UNUSED_PAD src0_sel:DWORD src1_sel:WORD_1
	v_fma_f16 v88, v119, v132, -v88
	v_fma_f16 v33, v33, v136, -v95
	v_pack_b32_f16 v33, v33, v118
	v_pack_b32_f16 v87, v88, v87
	ds_write2_b32 v96, v33, v87 offset0:7 offset1:250
	v_lshrrev_b32_e32 v33, 16, v32
	v_mul_f16_sdwa v87, v33, v134 dst_sel:DWORD dst_unused:UNUSED_PAD src0_sel:DWORD src1_sel:WORD_1
	v_fma_f16 v87, v32, v134, -v87
	v_mul_f16_sdwa v32, v32, v134 dst_sel:DWORD dst_unused:UNUSED_PAD src0_sel:DWORD src1_sel:WORD_1
	v_fma_f16 v32, v33, v134, v32
	v_lshrrev_b32_e32 v33, 16, v122
	v_mul_f16_sdwa v88, v33, v133 dst_sel:DWORD dst_unused:UNUSED_PAD src0_sel:DWORD src1_sel:WORD_1
	v_mul_f16_sdwa v95, v122, v133 dst_sel:DWORD dst_unused:UNUSED_PAD src0_sel:DWORD src1_sel:WORD_1
	v_fma_f16 v88, v122, v133, -v88
	v_fma_f16 v33, v33, v133, v95
	v_pack_b32_f16 v32, v87, v32
	v_pack_b32_f16 v33, v88, v33
	ds_write2_b32 v117, v33, v32 offset0:1 offset1:244
	s_waitcnt lgkmcnt(0)
	s_barrier
	ds_read2_b32 v[32:33], v85 offset0:2 offset1:245
	ds_read2_b32 v[87:88], v86 offset0:6 offset1:249
	;; [unrolled: 1-line block ×4, first 2 shown]
	ds_read2_b32 v[120:121], v64 offset1:243
	s_waitcnt lgkmcnt(3)
	v_pk_add_f16 v122, v88, v32 neg_lo:[0,1] neg_hi:[0,1]
	s_waitcnt lgkmcnt(2)
	v_pk_add_f16 v127, v88, v95 neg_lo:[0,1] neg_hi:[0,1]
	;; [unrolled: 2-line block ×3, first 2 shown]
	v_pk_add_f16 v126, v122, v123
	v_pk_add_f16 v122, v32, v119
	s_waitcnt lgkmcnt(0)
	v_pk_fma_f16 v122, v122, 0.5, v120 op_sel_hi:[1,0,1] neg_lo:[1,0,0] neg_hi:[1,0,0]
	v_pk_mul_f16 v123, v127, s12 op_sel_hi:[1,0]
	v_pk_add_f16 v128, v32, v119 neg_lo:[0,1] neg_hi:[0,1]
	v_pk_add_f16 v124, v122, v123 op_sel:[0,1] op_sel_hi:[1,0] neg_lo:[0,1] neg_hi:[0,1]
	v_pk_add_f16 v122, v122, v123 op_sel:[0,1] op_sel_hi:[1,0]
	v_pk_mul_f16 v123, v128, s7 op_sel_hi:[1,0]
	v_pk_add_f16 v130, v122, v123 op_sel:[0,1] op_sel_hi:[1,0]
	v_pk_add_f16 v122, v120, v88
	v_pk_add_f16 v122, v122, v32
	;; [unrolled: 1-line block ×3, first 2 shown]
	v_pk_add_f16 v32, v32, v88 neg_lo:[0,1] neg_hi:[0,1]
	v_pk_add_f16 v88, v88, v95
	v_pk_add_f16 v131, v122, v95
	v_pk_add_f16 v119, v119, v95 neg_lo:[0,1] neg_hi:[0,1]
	v_pk_fma_f16 v88, v88, 0.5, v120 op_sel_hi:[1,0,1] neg_lo:[1,0,0] neg_hi:[1,0,0]
	v_pk_mul_f16 v95, v128, s12 op_sel_hi:[1,0]
	v_pk_add_f16 v129, v124, v123 op_sel:[0,1] op_sel_hi:[1,0] neg_lo:[0,1] neg_hi:[0,1]
	ds_read_b32 v132, v64 offset:13608
	ds_read2_b32 v[122:123], v78 offset0:12 offset1:255
	ds_read2_b32 v[124:125], v76 offset0:6 offset1:249
	v_pk_add_f16 v32, v32, v119
	v_pk_add_f16 v119, v88, v95 op_sel:[0,1] op_sel_hi:[1,0]
	v_pk_add_f16 v88, v88, v95 op_sel:[0,1] op_sel_hi:[1,0] neg_lo:[0,1] neg_hi:[0,1]
	v_pk_mul_f16 v95, v127, s7 op_sel_hi:[1,0]
	v_pk_add_f16 v119, v119, v95 op_sel:[0,1] op_sel_hi:[1,0] neg_lo:[0,1] neg_hi:[0,1]
	v_pk_add_f16 v88, v88, v95 op_sel:[0,1] op_sel_hi:[1,0]
	v_bfi_b32 v95, s6, v119, v88
	v_bfi_b32 v88, s6, v88, v119
	v_pk_fma_f16 v95, v32, s13, v95 op_sel_hi:[1,0,1]
	v_pk_fma_f16 v32, v32, s13, v88 op_sel_hi:[1,0,1]
	s_waitcnt lgkmcnt(0)
	s_barrier
	ds_write2_b32 v89, v95, v32 offset0:2 offset1:3
	v_bfi_b32 v32, s6, v130, v129
	v_pk_fma_f16 v32, v126, s13, v32 op_sel_hi:[1,0,1]
	v_pk_add_f16 v95, v122, v33 neg_lo:[0,1] neg_hi:[0,1]
	v_pk_add_f16 v119, v96, v124 neg_lo:[0,1] neg_hi:[0,1]
	v_bfi_b32 v133, s6, v129, v130
	ds_write_b32 v89, v32 offset:16
	v_pk_add_f16 v32, v33, v124
	v_pk_add_f16 v95, v95, v119
	v_pk_add_f16 v119, v122, v96 neg_lo:[0,1] neg_hi:[0,1]
	v_pk_fma_f16 v133, v126, s13, v133 op_sel_hi:[1,0,1]
	v_pk_fma_f16 v32, v32, 0.5, v121 op_sel_hi:[1,0,1] neg_lo:[1,0,0] neg_hi:[1,0,0]
	v_pk_add_f16 v88, v122, v96
	v_pk_mul_f16 v120, v119, s12 op_sel_hi:[1,0]
	ds_write2_b32 v89, v131, v133 offset1:1
	v_pk_fma_f16 v88, v88, 0.5, v121 op_sel_hi:[1,0,1] neg_lo:[1,0,0] neg_hi:[1,0,0]
	v_pk_add_f16 v89, v121, v122
	v_pk_add_f16 v121, v32, v120 op_sel:[0,1] op_sel_hi:[1,0] neg_lo:[0,1] neg_hi:[0,1]
	v_pk_add_f16 v32, v32, v120 op_sel:[0,1] op_sel_hi:[1,0]
	v_pk_add_f16 v120, v33, v124 neg_lo:[0,1] neg_hi:[0,1]
	v_pk_mul_f16 v126, v120, s7 op_sel_hi:[1,0]
	v_pk_add_f16 v121, v121, v126 op_sel:[0,1] op_sel_hi:[1,0] neg_lo:[0,1] neg_hi:[0,1]
	v_pk_add_f16 v32, v32, v126 op_sel:[0,1] op_sel_hi:[1,0]
	v_pk_add_f16 v89, v89, v33
	v_pk_add_f16 v89, v89, v124
	v_bfi_b32 v126, s6, v121, v32
	v_pk_add_f16 v89, v89, v96
	v_pk_fma_f16 v126, v95, s13, v126 op_sel_hi:[1,0,1]
	ds_write2_b32 v92, v89, v126 offset1:1
	v_pk_add_f16 v33, v33, v122 neg_lo:[0,1] neg_hi:[0,1]
	v_pk_add_f16 v89, v124, v96 neg_lo:[0,1] neg_hi:[0,1]
	v_pk_add_f16 v33, v33, v89
	v_pk_mul_f16 v89, v120, s12 op_sel_hi:[1,0]
	v_pk_add_f16 v96, v88, v89 op_sel:[0,1] op_sel_hi:[1,0]
	v_pk_add_f16 v88, v88, v89 op_sel:[0,1] op_sel_hi:[1,0] neg_lo:[0,1] neg_hi:[0,1]
	v_pk_mul_f16 v89, v119, s7 op_sel_hi:[1,0]
	v_pk_add_f16 v96, v96, v89 op_sel:[0,1] op_sel_hi:[1,0] neg_lo:[0,1] neg_hi:[0,1]
	v_pk_add_f16 v88, v88, v89 op_sel:[0,1] op_sel_hi:[1,0]
	v_bfi_b32 v89, s6, v96, v88
	v_bfi_b32 v88, s6, v88, v96
	;; [unrolled: 1-line block ×3, first 2 shown]
	v_pk_fma_f16 v89, v33, s13, v89 op_sel_hi:[1,0,1]
	v_pk_fma_f16 v33, v33, s13, v88 op_sel_hi:[1,0,1]
	;; [unrolled: 1-line block ×3, first 2 shown]
	ds_write2_b32 v92, v89, v33 offset0:2 offset1:3
	ds_write_b32 v92, v32 offset:16
	v_pk_add_f16 v32, v123, v118 neg_lo:[0,1] neg_hi:[0,1]
	v_pk_add_f16 v33, v132, v125 neg_lo:[0,1] neg_hi:[0,1]
	v_pk_add_f16 v32, v32, v33
	v_pk_add_f16 v33, v118, v125
	v_pk_add_f16 v88, v123, v132 neg_lo:[0,1] neg_hi:[0,1]
	v_pk_fma_f16 v33, v33, 0.5, v87 op_sel_hi:[1,0,1] neg_lo:[1,0,0] neg_hi:[1,0,0]
	v_pk_mul_f16 v89, v88, s12 op_sel_hi:[1,0]
	v_pk_add_f16 v92, v33, v89 op_sel:[0,1] op_sel_hi:[1,0] neg_lo:[0,1] neg_hi:[0,1]
	v_pk_add_f16 v33, v33, v89 op_sel:[0,1] op_sel_hi:[1,0]
	v_pk_add_f16 v89, v118, v125 neg_lo:[0,1] neg_hi:[0,1]
	v_pk_mul_f16 v95, v89, s7 op_sel_hi:[1,0]
	v_pk_add_f16 v92, v92, v95 op_sel:[0,1] op_sel_hi:[1,0] neg_lo:[0,1] neg_hi:[0,1]
	v_pk_add_f16 v33, v33, v95 op_sel:[0,1] op_sel_hi:[1,0]
	v_pk_add_f16 v95, v87, v123
	v_pk_add_f16 v95, v95, v118
	;; [unrolled: 1-line block ×3, first 2 shown]
	v_bfi_b32 v96, s6, v92, v33
	v_pk_add_f16 v95, v95, v132
	v_pk_fma_f16 v96, v32, s13, v96 op_sel_hi:[1,0,1]
	ds_write2_b32 v90, v95, v96 offset1:1
	v_pk_add_f16 v96, v123, v132
	v_pk_add_f16 v95, v118, v123 neg_lo:[0,1] neg_hi:[0,1]
	v_pk_fma_f16 v87, v96, 0.5, v87 op_sel_hi:[1,0,1] neg_lo:[1,0,0] neg_hi:[1,0,0]
	v_pk_add_f16 v96, v125, v132 neg_lo:[0,1] neg_hi:[0,1]
	v_pk_mul_f16 v89, v89, s12 op_sel_hi:[1,0]
	v_pk_add_f16 v95, v95, v96
	v_pk_add_f16 v96, v87, v89 op_sel:[0,1] op_sel_hi:[1,0]
	v_pk_add_f16 v87, v87, v89 op_sel:[0,1] op_sel_hi:[1,0] neg_lo:[0,1] neg_hi:[0,1]
	v_pk_mul_f16 v88, v88, s7 op_sel_hi:[1,0]
	v_pk_add_f16 v89, v96, v88 op_sel:[0,1] op_sel_hi:[1,0] neg_lo:[0,1] neg_hi:[0,1]
	v_pk_add_f16 v87, v87, v88 op_sel:[0,1] op_sel_hi:[1,0]
	v_bfi_b32 v88, s6, v89, v87
	v_bfi_b32 v87, s6, v87, v89
	;; [unrolled: 1-line block ×3, first 2 shown]
	v_pk_fma_f16 v88, v95, s13, v88 op_sel_hi:[1,0,1]
	v_pk_fma_f16 v87, v95, s13, v87 op_sel_hi:[1,0,1]
	;; [unrolled: 1-line block ×3, first 2 shown]
	ds_write2_b32 v90, v88, v87 offset0:2 offset1:3
	ds_write_b32 v90, v32 offset:16
	s_waitcnt lgkmcnt(0)
	s_barrier
	ds_read_b32 v87, v64 offset:13608
	ds_read2_b32 v[32:33], v84 offset0:8 offset1:251
	s_movk_i32 s6, 0x1ff
	s_movk_i32 s7, 0xffe
	s_waitcnt lgkmcnt(1)
	v_lshrrev_b32_e32 v88, 16, v87
	v_mul_f16_sdwa v89, v27, v88 dst_sel:DWORD dst_unused:UNUSED_PAD src0_sel:WORD_1 src1_sel:DWORD
	v_fma_f16 v89, v27, v87, v89
	v_mul_f16_sdwa v87, v27, v87 dst_sel:DWORD dst_unused:UNUSED_PAD src0_sel:WORD_1 src1_sel:DWORD
	v_fma_f16 v87, v27, v88, -v87
	s_waitcnt lgkmcnt(0)
	v_lshrrev_b32_e32 v27, 16, v33
	v_mul_f16_sdwa v88, v26, v33 dst_sel:DWORD dst_unused:UNUSED_PAD src0_sel:WORD_1 src1_sel:DWORD
	v_fma_f16 v88, v26, v27, -v88
	v_mul_f16_sdwa v27, v26, v27 dst_sel:DWORD dst_unused:UNUSED_PAD src0_sel:WORD_1 src1_sel:DWORD
	v_fma_f16 v33, v26, v33, v27
	ds_read2_b32 v[26:27], v83 offset0:4 offset1:247
	v_lshrrev_b32_e32 v90, 16, v32
	v_mul_f16_sdwa v92, v10, v90 dst_sel:DWORD dst_unused:UNUSED_PAD src0_sel:WORD_1 src1_sel:DWORD
	v_fma_f16 v92, v10, v32, v92
	v_mul_f16_sdwa v32, v10, v32 dst_sel:DWORD dst_unused:UNUSED_PAD src0_sel:WORD_1 src1_sel:DWORD
	v_fma_f16 v32, v10, v90, -v32
	s_waitcnt lgkmcnt(0)
	v_lshrrev_b32_e32 v10, 16, v27
	v_mul_f16_sdwa v90, v11, v27 dst_sel:DWORD dst_unused:UNUSED_PAD src0_sel:WORD_1 src1_sel:DWORD
	v_fma_f16 v90, v11, v10, -v90
	v_mul_f16_sdwa v10, v11, v10 dst_sel:DWORD dst_unused:UNUSED_PAD src0_sel:WORD_1 src1_sel:DWORD
	v_fma_f16 v27, v11, v27, v10
	ds_read2_b32 v[10:11], v85 offset0:2 offset1:245
	;; [unrolled: 12-line block ×3, first 2 shown]
	v_lshrrev_b32_e32 v118, 16, v10
	v_mul_f16_sdwa v119, v4, v118 dst_sel:DWORD dst_unused:UNUSED_PAD src0_sel:WORD_1 src1_sel:DWORD
	v_fma_f16 v119, v4, v10, v119
	v_mul_f16_sdwa v10, v4, v10 dst_sel:DWORD dst_unused:UNUSED_PAD src0_sel:WORD_1 src1_sel:DWORD
	v_fma_f16 v10, v4, v118, -v10
	s_waitcnt lgkmcnt(0)
	v_lshrrev_b32_e32 v4, 16, v7
	v_mul_f16_sdwa v118, v5, v7 dst_sel:DWORD dst_unused:UNUSED_PAD src0_sel:WORD_1 src1_sel:DWORD
	v_fma_f16 v118, v5, v4, -v118
	v_mul_f16_sdwa v4, v5, v4 dst_sel:DWORD dst_unused:UNUSED_PAD src0_sel:WORD_1 src1_sel:DWORD
	v_fma_f16 v120, v5, v7, v4
	v_lshrrev_b32_e32 v7, 16, v6
	ds_read2_b32 v[4:5], v78 offset0:12 offset1:255
	v_mul_f16_sdwa v121, v3, v7 dst_sel:DWORD dst_unused:UNUSED_PAD src0_sel:WORD_1 src1_sel:DWORD
	v_fma_f16 v121, v3, v6, v121
	v_mul_f16_sdwa v6, v3, v6 dst_sel:DWORD dst_unused:UNUSED_PAD src0_sel:WORD_1 src1_sel:DWORD
	v_fma_f16 v3, v3, v7, -v6
	ds_read2_b32 v[6:7], v64 offset1:243
	s_waitcnt lgkmcnt(1)
	v_lshrrev_b32_e32 v122, 16, v5
	v_mul_f16_sdwa v123, v2, v5 dst_sel:DWORD dst_unused:UNUSED_PAD src0_sel:WORD_1 src1_sel:DWORD
	v_fma_f16 v123, v2, v122, -v123
	v_mul_f16_sdwa v122, v2, v122 dst_sel:DWORD dst_unused:UNUSED_PAD src0_sel:WORD_1 src1_sel:DWORD
	v_fma_f16 v2, v2, v5, v122
	s_waitcnt lgkmcnt(0)
	v_lshrrev_b32_e32 v5, 16, v6
	v_add_f16_e32 v122, v5, v123
	v_add_f16_e32 v122, v122, v3
	v_sub_f16_e32 v124, v123, v3
	v_add_f16_e32 v3, v123, v3
	v_fma_f16 v5, v3, -0.5, v5
	v_add_f16_e32 v3, v6, v2
	v_add_f16_e32 v123, v2, v121
	;; [unrolled: 1-line block ×3, first 2 shown]
	v_sub_f16_e32 v121, v2, v121
	v_fma_f16 v6, v123, -0.5, v6
	v_pack_b32_f16 v122, v3, v122
	v_fma_f16 v2, v124, s1, v6
	v_fma_f16 v3, v121, s0, v5
	;; [unrolled: 1-line block ×4, first 2 shown]
	v_pack_b32_f16 v5, v6, v5
	v_pack_b32_f16 v123, v2, v3
	ds_read2_b32 v[2:3], v86 offset0:6 offset1:249
	s_waitcnt lgkmcnt(0)
	s_barrier
	ds_write_b32 v91, v5 offset:40
	v_add_f16_e32 v5, v119, v120
	v_lshrrev_b32_e32 v6, 16, v7
	ds_write2_b32 v91, v122, v123 offset1:5
	v_fma_f16 v5, v5, -0.5, v7
	v_add_f16_e32 v7, v7, v119
	v_add_f16_e32 v91, v6, v10
	v_sub_f16_e32 v121, v10, v118
	v_add_f16_e32 v10, v10, v118
	v_add_f16_e32 v91, v91, v118
	v_fma_f16 v6, v10, -0.5, v6
	v_add_f16_e32 v7, v7, v120
	v_sub_f16_e32 v10, v119, v120
	v_pack_b32_f16 v7, v7, v91
	v_fma_f16 v91, v121, s1, v5
	v_fma_f16 v118, v10, s0, v6
	;; [unrolled: 1-line block ×4, first 2 shown]
	v_pack_b32_f16 v5, v5, v6
	ds_write_b32 v93, v5 offset:40
	v_lshrrev_b32_e32 v5, 16, v2
	v_pack_b32_f16 v91, v91, v118
	v_add_f16_e32 v6, v5, v95
	v_add_f16_e32 v10, v95, v26
	ds_write2_b32 v93, v7, v91 offset1:5
	v_add_f16_e32 v6, v6, v26
	v_sub_f16_e32 v7, v95, v26
	v_fma_f16 v5, v10, -0.5, v5
	v_add_f16_e32 v10, v2, v11
	v_add_f16_e32 v26, v11, v96
	;; [unrolled: 1-line block ×3, first 2 shown]
	v_sub_f16_e32 v11, v11, v96
	v_fma_f16 v2, v26, -0.5, v2
	v_pack_b32_f16 v6, v10, v6
	v_fma_f16 v10, v7, s1, v2
	v_fma_f16 v26, v11, s0, v5
	;; [unrolled: 1-line block ×4, first 2 shown]
	v_pack_b32_f16 v2, v2, v5
	v_pack_b32_f16 v10, v10, v26
	ds_write_b32 v94, v2 offset:40
	v_add_f16_e32 v2, v92, v27
	v_lshrrev_b32_e32 v5, 16, v3
	ds_write2_b32 v94, v6, v10 offset1:5
	v_fma_f16 v2, v2, -0.5, v3
	v_add_f16_e32 v3, v3, v92
	v_add_f16_e32 v6, v5, v32
	;; [unrolled: 1-line block ×4, first 2 shown]
	v_sub_f16_e32 v7, v32, v90
	v_fma_f16 v5, v10, -0.5, v5
	v_add_f16_e32 v3, v3, v27
	v_sub_f16_e32 v10, v92, v27
	v_pack_b32_f16 v3, v3, v6
	v_fma_f16 v6, v7, s1, v2
	v_fma_f16 v11, v10, s0, v5
	v_pack_b32_f16 v6, v6, v11
	ds_write2_b32 v97, v3, v6 offset1:5
	v_fma_f16 v2, v7, s0, v2
	v_fma_f16 v3, v10, s1, v5
	v_pack_b32_f16 v2, v2, v3
	ds_write_b32 v97, v2 offset:40
	v_add_f16_e32 v2, v33, v89
	v_lshrrev_b32_e32 v3, 16, v4
	v_fma_f16 v2, v2, -0.5, v4
	v_add_f16_e32 v4, v4, v33
	v_add_f16_e32 v5, v3, v88
	;; [unrolled: 1-line block ×4, first 2 shown]
	v_sub_f16_e32 v6, v88, v87
	v_fma_f16 v3, v7, -0.5, v3
	v_add_f16_e32 v4, v4, v89
	v_sub_f16_e32 v7, v33, v89
	v_pack_b32_f16 v4, v4, v5
	v_fma_f16 v5, v6, s1, v2
	v_fma_f16 v10, v7, s0, v3
	;; [unrolled: 1-line block ×4, first 2 shown]
	v_pack_b32_f16 v5, v5, v10
	v_pack_b32_f16 v2, v2, v3
	ds_write2_b32 v98, v4, v5 offset1:5
	ds_write_b32 v98, v2 offset:40
	s_waitcnt lgkmcnt(0)
	s_barrier
	ds_read_b32 v4, v64 offset:13608
	ds_read2_b32 v[2:3], v84 offset0:8 offset1:251
	s_waitcnt lgkmcnt(1)
	v_lshrrev_b32_e32 v5, 16, v4
	v_mul_f16_sdwa v6, v31, v5 dst_sel:DWORD dst_unused:UNUSED_PAD src0_sel:WORD_1 src1_sel:DWORD
	v_fma_f16 v7, v31, v4, v6
	v_mul_f16_sdwa v4, v31, v4 dst_sel:DWORD dst_unused:UNUSED_PAD src0_sel:WORD_1 src1_sel:DWORD
	v_fma_f16 v10, v31, v5, -v4
	s_waitcnt lgkmcnt(0)
	v_lshrrev_b32_e32 v4, 16, v3
	v_mul_f16_sdwa v5, v30, v3 dst_sel:DWORD dst_unused:UNUSED_PAD src0_sel:WORD_1 src1_sel:DWORD
	v_fma_f16 v11, v30, v4, -v5
	v_mul_f16_sdwa v4, v30, v4 dst_sel:DWORD dst_unused:UNUSED_PAD src0_sel:WORD_1 src1_sel:DWORD
	v_fma_f16 v26, v30, v3, v4
	ds_read2_b32 v[3:4], v83 offset0:4 offset1:247
	v_lshrrev_b32_e32 v5, 16, v2
	v_mul_f16_sdwa v6, v14, v5 dst_sel:DWORD dst_unused:UNUSED_PAD src0_sel:WORD_1 src1_sel:DWORD
	v_fma_f16 v27, v14, v2, v6
	v_mul_f16_sdwa v2, v14, v2 dst_sel:DWORD dst_unused:UNUSED_PAD src0_sel:WORD_1 src1_sel:DWORD
	v_fma_f16 v14, v14, v5, -v2
	s_waitcnt lgkmcnt(0)
	v_lshrrev_b32_e32 v2, 16, v4
	v_mul_f16_sdwa v5, v15, v4 dst_sel:DWORD dst_unused:UNUSED_PAD src0_sel:WORD_1 src1_sel:DWORD
	v_fma_f16 v30, v15, v2, -v5
	v_mul_f16_sdwa v2, v15, v2 dst_sel:DWORD dst_unused:UNUSED_PAD src0_sel:WORD_1 src1_sel:DWORD
	v_fma_f16 v15, v15, v4, v2
	ds_read2_b32 v[4:5], v85 offset0:2 offset1:245
	;; [unrolled: 12-line block ×3, first 2 shown]
	v_lshrrev_b32_e32 v5, 16, v4
	v_mul_f16_sdwa v6, v16, v5 dst_sel:DWORD dst_unused:UNUSED_PAD src0_sel:WORD_1 src1_sel:DWORD
	v_fma_f16 v33, v16, v4, v6
	v_mul_f16_sdwa v4, v16, v4 dst_sel:DWORD dst_unused:UNUSED_PAD src0_sel:WORD_1 src1_sel:DWORD
	v_fma_f16 v16, v16, v5, -v4
	s_waitcnt lgkmcnt(0)
	v_lshrrev_b32_e32 v4, 16, v3
	v_mul_f16_sdwa v5, v17, v3 dst_sel:DWORD dst_unused:UNUSED_PAD src0_sel:WORD_1 src1_sel:DWORD
	v_fma_f16 v87, v17, v4, -v5
	v_mul_f16_sdwa v4, v17, v4 dst_sel:DWORD dst_unused:UNUSED_PAD src0_sel:WORD_1 src1_sel:DWORD
	v_lshrrev_b32_e32 v5, 16, v2
	v_fma_f16 v17, v17, v3, v4
	ds_read2_b32 v[3:4], v78 offset0:12 offset1:255
	v_mul_f16_sdwa v6, v13, v5 dst_sel:DWORD dst_unused:UNUSED_PAD src0_sel:WORD_1 src1_sel:DWORD
	v_fma_f16 v88, v13, v2, v6
	v_mul_f16_sdwa v2, v13, v2 dst_sel:DWORD dst_unused:UNUSED_PAD src0_sel:WORD_1 src1_sel:DWORD
	v_fma_f16 v2, v13, v5, -v2
	ds_read2_b32 v[5:6], v64 offset1:243
	s_waitcnt lgkmcnt(1)
	v_lshrrev_b32_e32 v13, 16, v4
	v_mul_f16_sdwa v89, v12, v4 dst_sel:DWORD dst_unused:UNUSED_PAD src0_sel:WORD_1 src1_sel:DWORD
	v_fma_f16 v89, v12, v13, -v89
	v_mul_f16_sdwa v13, v12, v13 dst_sel:DWORD dst_unused:UNUSED_PAD src0_sel:WORD_1 src1_sel:DWORD
	v_fma_f16 v4, v12, v4, v13
	s_waitcnt lgkmcnt(0)
	v_lshrrev_b32_e32 v12, 16, v5
	v_add_f16_e32 v13, v12, v89
	v_add_f16_e32 v13, v13, v2
	v_sub_f16_e32 v90, v89, v2
	v_add_f16_e32 v2, v89, v2
	v_fma_f16 v2, v2, -0.5, v12
	v_add_f16_e32 v12, v5, v4
	v_add_f16_e32 v12, v12, v88
	;; [unrolled: 1-line block ×3, first 2 shown]
	v_sub_f16_e32 v88, v4, v88
	v_pack_b32_f16 v12, v12, v13
	v_fma_f16 v13, v89, -0.5, v5
	v_fma_f16 v4, v90, s1, v13
	v_fma_f16 v5, v88, s0, v2
	v_pack_b32_f16 v89, v4, v5
	ds_read2_b32 v[4:5], v86 offset0:6 offset1:249
	s_waitcnt lgkmcnt(0)
	s_barrier
	ds_write2_b32 v99, v12, v89 offset1:15
	v_fma_f16 v12, v90, s0, v13
	v_fma_f16 v2, v88, s1, v2
	v_pack_b32_f16 v2, v12, v2
	ds_write_b32 v99, v2 offset:120
	v_add_f16_e32 v2, v33, v17
	v_lshrrev_b32_e32 v12, 16, v6
	v_fma_f16 v2, v2, -0.5, v6
	v_add_f16_e32 v6, v6, v33
	v_add_f16_e32 v13, v12, v16
	v_sub_f16_e32 v88, v16, v87
	v_add_f16_e32 v16, v16, v87
	v_add_f16_e32 v13, v13, v87
	v_fma_f16 v12, v16, -0.5, v12
	v_add_f16_e32 v6, v6, v17
	v_sub_f16_e32 v16, v33, v17
	v_pack_b32_f16 v6, v6, v13
	v_fma_f16 v13, v88, s1, v2
	v_fma_f16 v17, v16, s0, v12
	v_pack_b32_f16 v13, v13, v17
	ds_write2_b32 v100, v6, v13 offset1:15
	v_fma_f16 v2, v88, s0, v2
	v_fma_f16 v6, v16, s1, v12
	v_pack_b32_f16 v2, v2, v6
	ds_write_b32 v100, v2 offset:120
	v_lshrrev_b32_e32 v2, 16, v4
	v_add_f16_e32 v6, v2, v32
	v_add_f16_e32 v6, v6, v9
	v_sub_f16_e32 v12, v32, v9
	v_add_f16_e32 v9, v32, v9
	v_fma_f16 v2, v9, -0.5, v2
	v_add_f16_e32 v9, v4, v8
	v_add_f16_e32 v13, v8, v31
	;; [unrolled: 1-line block ×3, first 2 shown]
	v_sub_f16_e32 v8, v8, v31
	v_fma_f16 v4, v13, -0.5, v4
	v_pack_b32_f16 v6, v9, v6
	v_fma_f16 v9, v12, s1, v4
	v_fma_f16 v13, v8, s0, v2
	;; [unrolled: 1-line block ×4, first 2 shown]
	v_pack_b32_f16 v2, v4, v2
	v_pack_b32_f16 v9, v9, v13
	ds_write_b32 v101, v2 offset:120
	v_add_f16_e32 v2, v27, v15
	v_lshrrev_b32_e32 v4, 16, v5
	ds_write2_b32 v101, v6, v9 offset1:15
	v_fma_f16 v2, v2, -0.5, v5
	v_add_f16_e32 v5, v5, v27
	v_add_f16_e32 v6, v4, v14
	;; [unrolled: 1-line block ×4, first 2 shown]
	v_sub_f16_e32 v8, v14, v30
	v_fma_f16 v4, v9, -0.5, v4
	v_add_f16_e32 v5, v5, v15
	v_sub_f16_e32 v9, v27, v15
	v_pack_b32_f16 v5, v5, v6
	v_fma_f16 v6, v8, s1, v2
	v_fma_f16 v12, v9, s0, v4
	;; [unrolled: 1-line block ×4, first 2 shown]
	v_pack_b32_f16 v2, v2, v4
	v_pack_b32_f16 v6, v6, v12
	ds_write_b32 v102, v2 offset:120
	v_add_f16_e32 v2, v26, v7
	v_lshrrev_b32_e32 v4, 16, v3
	ds_write2_b32 v102, v5, v6 offset1:15
	v_fma_f16 v2, v2, -0.5, v3
	v_add_f16_e32 v3, v3, v26
	v_add_f16_e32 v5, v4, v11
	;; [unrolled: 1-line block ×4, first 2 shown]
	v_sub_f16_e32 v6, v11, v10
	v_fma_f16 v4, v8, -0.5, v4
	v_add_f16_e32 v3, v3, v7
	v_sub_f16_e32 v7, v26, v7
	v_pack_b32_f16 v3, v3, v5
	v_fma_f16 v5, v6, s1, v2
	v_fma_f16 v8, v7, s0, v4
	v_pack_b32_f16 v5, v5, v8
	ds_write2_b32 v103, v3, v5 offset1:15
	v_fma_f16 v2, v6, s0, v2
	v_fma_f16 v3, v7, s1, v4
	v_pack_b32_f16 v2, v2, v3
	ds_write_b32 v103, v2 offset:120
	s_waitcnt lgkmcnt(0)
	s_barrier
	ds_read_b32 v4, v64 offset:13608
	ds_read2_b32 v[2:3], v84 offset0:8 offset1:251
	s_waitcnt lgkmcnt(1)
	v_lshrrev_b32_e32 v5, 16, v4
	v_mul_f16_sdwa v6, v39, v5 dst_sel:DWORD dst_unused:UNUSED_PAD src0_sel:WORD_1 src1_sel:DWORD
	v_fma_f16 v7, v39, v4, v6
	v_mul_f16_sdwa v4, v39, v4 dst_sel:DWORD dst_unused:UNUSED_PAD src0_sel:WORD_1 src1_sel:DWORD
	v_fma_f16 v8, v39, v5, -v4
	s_waitcnt lgkmcnt(0)
	v_lshrrev_b32_e32 v4, 16, v3
	v_mul_f16_sdwa v5, v38, v3 dst_sel:DWORD dst_unused:UNUSED_PAD src0_sel:WORD_1 src1_sel:DWORD
	v_fma_f16 v9, v38, v4, -v5
	v_mul_f16_sdwa v4, v38, v4 dst_sel:DWORD dst_unused:UNUSED_PAD src0_sel:WORD_1 src1_sel:DWORD
	v_fma_f16 v10, v38, v3, v4
	ds_read2_b32 v[3:4], v83 offset0:4 offset1:247
	v_lshrrev_b32_e32 v5, 16, v2
	v_mul_f16_sdwa v6, v22, v5 dst_sel:DWORD dst_unused:UNUSED_PAD src0_sel:WORD_1 src1_sel:DWORD
	v_fma_f16 v11, v22, v2, v6
	v_mul_f16_sdwa v2, v22, v2 dst_sel:DWORD dst_unused:UNUSED_PAD src0_sel:WORD_1 src1_sel:DWORD
	v_fma_f16 v12, v22, v5, -v2
	s_waitcnt lgkmcnt(0)
	v_lshrrev_b32_e32 v2, 16, v4
	v_mul_f16_sdwa v5, v23, v4 dst_sel:DWORD dst_unused:UNUSED_PAD src0_sel:WORD_1 src1_sel:DWORD
	v_fma_f16 v13, v23, v2, -v5
	v_mul_f16_sdwa v2, v23, v2 dst_sel:DWORD dst_unused:UNUSED_PAD src0_sel:WORD_1 src1_sel:DWORD
	v_fma_f16 v14, v23, v4, v2
	ds_read2_b32 v[4:5], v85 offset0:2 offset1:245
	;; [unrolled: 12-line block ×3, first 2 shown]
	v_lshrrev_b32_e32 v5, 16, v4
	v_mul_f16_sdwa v6, v24, v5 dst_sel:DWORD dst_unused:UNUSED_PAD src0_sel:WORD_1 src1_sel:DWORD
	v_fma_f16 v19, v24, v4, v6
	v_mul_f16_sdwa v4, v24, v4 dst_sel:DWORD dst_unused:UNUSED_PAD src0_sel:WORD_1 src1_sel:DWORD
	v_fma_f16 v22, v24, v5, -v4
	s_waitcnt lgkmcnt(0)
	v_lshrrev_b32_e32 v4, 16, v3
	v_mul_f16_sdwa v5, v25, v3 dst_sel:DWORD dst_unused:UNUSED_PAD src0_sel:WORD_1 src1_sel:DWORD
	v_fma_f16 v23, v25, v4, -v5
	v_mul_f16_sdwa v4, v25, v4 dst_sel:DWORD dst_unused:UNUSED_PAD src0_sel:WORD_1 src1_sel:DWORD
	v_lshrrev_b32_e32 v5, 16, v2
	v_fma_f16 v24, v25, v3, v4
	ds_read2_b32 v[3:4], v78 offset0:12 offset1:255
	v_mul_f16_sdwa v6, v21, v5 dst_sel:DWORD dst_unused:UNUSED_PAD src0_sel:WORD_1 src1_sel:DWORD
	v_fma_f16 v25, v21, v2, v6
	v_mul_f16_sdwa v2, v21, v2 dst_sel:DWORD dst_unused:UNUSED_PAD src0_sel:WORD_1 src1_sel:DWORD
	v_fma_f16 v2, v21, v5, -v2
	ds_read2_b32 v[5:6], v64 offset1:243
	s_waitcnt lgkmcnt(1)
	v_lshrrev_b32_e32 v21, 16, v4
	v_mul_f16_sdwa v26, v20, v4 dst_sel:DWORD dst_unused:UNUSED_PAD src0_sel:WORD_1 src1_sel:DWORD
	v_fma_f16 v26, v20, v21, -v26
	v_mul_f16_sdwa v21, v20, v21 dst_sel:DWORD dst_unused:UNUSED_PAD src0_sel:WORD_1 src1_sel:DWORD
	v_fma_f16 v4, v20, v4, v21
	s_waitcnt lgkmcnt(0)
	v_lshrrev_b32_e32 v20, 16, v5
	v_add_f16_e32 v21, v20, v26
	v_add_f16_e32 v21, v21, v2
	v_sub_f16_e32 v27, v26, v2
	v_add_f16_e32 v2, v26, v2
	v_fma_f16 v2, v2, -0.5, v20
	v_add_f16_e32 v20, v5, v4
	v_add_f16_e32 v20, v20, v25
	v_add_f16_e32 v26, v4, v25
	v_sub_f16_e32 v25, v4, v25
	v_pack_b32_f16 v20, v20, v21
	v_fma_f16 v21, v26, -0.5, v5
	v_fma_f16 v4, v27, s1, v21
	v_fma_f16 v5, v25, s0, v2
	v_pack_b32_f16 v26, v4, v5
	ds_read2_b32 v[4:5], v86 offset0:6 offset1:249
	s_waitcnt lgkmcnt(0)
	s_barrier
	ds_write2_b32 v104, v20, v26 offset1:45
	v_fma_f16 v20, v27, s0, v21
	v_fma_f16 v2, v25, s1, v2
	v_pack_b32_f16 v2, v20, v2
	ds_write_b32 v104, v2 offset:360
	v_add_f16_e32 v2, v19, v24
	v_lshrrev_b32_e32 v20, 16, v6
	v_fma_f16 v2, v2, -0.5, v6
	v_add_f16_e32 v6, v6, v19
	v_add_f16_e32 v21, v20, v22
	v_sub_f16_e32 v25, v22, v23
	v_add_f16_e32 v22, v22, v23
	v_add_f16_e32 v21, v21, v23
	v_fma_f16 v20, v22, -0.5, v20
	v_add_f16_e32 v6, v6, v24
	v_sub_f16_e32 v19, v19, v24
	v_pack_b32_f16 v6, v6, v21
	v_fma_f16 v21, v25, s1, v2
	v_fma_f16 v22, v19, s0, v20
	v_pack_b32_f16 v21, v21, v22
	ds_write2_b32 v106, v6, v21 offset1:45
	v_fma_f16 v2, v25, s0, v2
	v_fma_f16 v6, v19, s1, v20
	v_pack_b32_f16 v2, v2, v6
	ds_write_b32 v106, v2 offset:360
	v_lshrrev_b32_e32 v2, 16, v4
	v_add_f16_e32 v6, v2, v17
	v_add_f16_e32 v6, v6, v16
	v_sub_f16_e32 v19, v17, v16
	v_add_f16_e32 v16, v17, v16
	v_fma_f16 v2, v16, -0.5, v2
	v_add_f16_e32 v16, v4, v18
	v_add_f16_e32 v17, v18, v15
	;; [unrolled: 1-line block ×3, first 2 shown]
	v_sub_f16_e32 v15, v18, v15
	v_fma_f16 v4, v17, -0.5, v4
	v_pack_b32_f16 v6, v16, v6
	v_fma_f16 v16, v19, s1, v4
	v_fma_f16 v17, v15, s0, v2
	v_fma_f16 v4, v19, s0, v4
	v_fma_f16 v2, v15, s1, v2
	v_pack_b32_f16 v2, v4, v2
	v_pack_b32_f16 v16, v16, v17
	ds_write_b32 v107, v2 offset:360
	v_add_f16_e32 v2, v11, v14
	v_lshrrev_b32_e32 v4, 16, v5
	ds_write2_b32 v107, v6, v16 offset1:45
	v_fma_f16 v2, v2, -0.5, v5
	v_add_f16_e32 v5, v5, v11
	v_add_f16_e32 v6, v4, v12
	v_sub_f16_e32 v15, v12, v13
	v_add_f16_e32 v12, v12, v13
	v_add_f16_e32 v6, v6, v13
	v_fma_f16 v4, v12, -0.5, v4
	v_add_f16_e32 v5, v5, v14
	v_sub_f16_e32 v11, v11, v14
	v_pack_b32_f16 v5, v5, v6
	v_fma_f16 v6, v15, s1, v2
	v_fma_f16 v12, v11, s0, v4
	;; [unrolled: 1-line block ×4, first 2 shown]
	v_pack_b32_f16 v6, v6, v12
	v_pack_b32_f16 v2, v2, v4
	v_lshrrev_b32_e32 v4, 16, v3
	ds_write2_b32 v108, v5, v6 offset1:45
	ds_write_b32 v108, v2 offset:360
	v_add_f16_e32 v2, v10, v7
	v_add_f16_e32 v5, v4, v9
	v_fma_f16 v2, v2, -0.5, v3
	v_add_f16_e32 v3, v3, v10
	v_add_f16_e32 v5, v5, v8
	v_sub_f16_e32 v6, v9, v8
	v_add_f16_e32 v8, v9, v8
	v_fma_f16 v4, v8, -0.5, v4
	v_add_f16_e32 v3, v3, v7
	v_sub_f16_e32 v7, v10, v7
	v_pack_b32_f16 v3, v3, v5
	v_fma_f16 v5, v6, s1, v2
	v_fma_f16 v8, v7, s0, v4
	v_pack_b32_f16 v5, v5, v8
	ds_write2_b32 v109, v3, v5 offset1:45
	v_fma_f16 v2, v6, s0, v2
	v_fma_f16 v3, v7, s1, v4
	v_pack_b32_f16 v2, v2, v3
	ds_write_b32 v109, v2 offset:360
	s_waitcnt lgkmcnt(0)
	s_barrier
	ds_read_b32 v4, v64 offset:13608
	ds_read2_b32 v[2:3], v84 offset0:8 offset1:251
	s_waitcnt lgkmcnt(1)
	v_lshrrev_b32_e32 v5, 16, v4
	v_mul_f16_sdwa v6, v45, v5 dst_sel:DWORD dst_unused:UNUSED_PAD src0_sel:WORD_1 src1_sel:DWORD
	v_fma_f16 v7, v45, v4, v6
	v_mul_f16_sdwa v4, v45, v4 dst_sel:DWORD dst_unused:UNUSED_PAD src0_sel:WORD_1 src1_sel:DWORD
	v_fma_f16 v8, v45, v5, -v4
	s_waitcnt lgkmcnt(0)
	v_lshrrev_b32_e32 v4, 16, v3
	v_mul_f16_sdwa v5, v44, v3 dst_sel:DWORD dst_unused:UNUSED_PAD src0_sel:WORD_1 src1_sel:DWORD
	v_fma_f16 v9, v44, v4, -v5
	v_mul_f16_sdwa v4, v44, v4 dst_sel:DWORD dst_unused:UNUSED_PAD src0_sel:WORD_1 src1_sel:DWORD
	v_fma_f16 v10, v44, v3, v4
	ds_read2_b32 v[3:4], v83 offset0:4 offset1:247
	v_lshrrev_b32_e32 v5, 16, v2
	v_mul_f16_sdwa v6, v40, v5 dst_sel:DWORD dst_unused:UNUSED_PAD src0_sel:WORD_1 src1_sel:DWORD
	v_fma_f16 v11, v40, v2, v6
	v_mul_f16_sdwa v2, v40, v2 dst_sel:DWORD dst_unused:UNUSED_PAD src0_sel:WORD_1 src1_sel:DWORD
	v_fma_f16 v12, v40, v5, -v2
	s_waitcnt lgkmcnt(0)
	v_lshrrev_b32_e32 v2, 16, v4
	v_mul_f16_sdwa v5, v41, v4 dst_sel:DWORD dst_unused:UNUSED_PAD src0_sel:WORD_1 src1_sel:DWORD
	v_fma_f16 v13, v41, v2, -v5
	v_mul_f16_sdwa v2, v41, v2 dst_sel:DWORD dst_unused:UNUSED_PAD src0_sel:WORD_1 src1_sel:DWORD
	v_fma_f16 v14, v41, v4, v2
	ds_read2_b32 v[4:5], v85 offset0:2 offset1:245
	;; [unrolled: 12-line block ×3, first 2 shown]
	v_lshrrev_b32_e32 v5, 16, v4
	v_mul_f16_sdwa v6, v34, v5 dst_sel:DWORD dst_unused:UNUSED_PAD src0_sel:WORD_1 src1_sel:DWORD
	v_fma_f16 v19, v34, v4, v6
	v_mul_f16_sdwa v4, v34, v4 dst_sel:DWORD dst_unused:UNUSED_PAD src0_sel:WORD_1 src1_sel:DWORD
	v_fma_f16 v20, v34, v5, -v4
	s_waitcnt lgkmcnt(0)
	v_lshrrev_b32_e32 v4, 16, v3
	v_mul_f16_sdwa v5, v35, v3 dst_sel:DWORD dst_unused:UNUSED_PAD src0_sel:WORD_1 src1_sel:DWORD
	v_fma_f16 v21, v35, v4, -v5
	v_mul_f16_sdwa v4, v35, v4 dst_sel:DWORD dst_unused:UNUSED_PAD src0_sel:WORD_1 src1_sel:DWORD
	v_lshrrev_b32_e32 v5, 16, v2
	v_fma_f16 v22, v35, v3, v4
	ds_read2_b32 v[3:4], v78 offset0:12 offset1:255
	v_mul_f16_sdwa v6, v29, v5 dst_sel:DWORD dst_unused:UNUSED_PAD src0_sel:WORD_1 src1_sel:DWORD
	v_fma_f16 v23, v29, v2, v6
	v_mul_f16_sdwa v2, v29, v2 dst_sel:DWORD dst_unused:UNUSED_PAD src0_sel:WORD_1 src1_sel:DWORD
	v_fma_f16 v2, v29, v5, -v2
	ds_read2_b32 v[5:6], v64 offset1:243
	s_waitcnt lgkmcnt(1)
	v_lshrrev_b32_e32 v24, 16, v4
	v_mul_f16_sdwa v25, v28, v4 dst_sel:DWORD dst_unused:UNUSED_PAD src0_sel:WORD_1 src1_sel:DWORD
	v_fma_f16 v25, v28, v24, -v25
	v_mul_f16_sdwa v24, v28, v24 dst_sel:DWORD dst_unused:UNUSED_PAD src0_sel:WORD_1 src1_sel:DWORD
	v_fma_f16 v4, v28, v4, v24
	s_waitcnt lgkmcnt(0)
	v_lshrrev_b32_e32 v24, 16, v5
	v_add_f16_e32 v26, v24, v25
	v_add_f16_e32 v26, v26, v2
	v_sub_f16_e32 v27, v25, v2
	v_add_f16_e32 v2, v25, v2
	v_fma_f16 v2, v2, -0.5, v24
	v_add_f16_e32 v24, v5, v4
	v_add_f16_e32 v25, v4, v23
	v_add_f16_e32 v24, v24, v23
	v_sub_f16_e32 v23, v4, v23
	v_fma_f16 v25, v25, -0.5, v5
	v_fma_f16 v4, v27, s1, v25
	v_fma_f16 v5, v23, s0, v2
	v_pack_b32_f16 v24, v24, v26
	v_pack_b32_f16 v26, v4, v5
	ds_read2_b32 v[4:5], v86 offset0:6 offset1:249
	s_waitcnt lgkmcnt(0)
	s_barrier
	ds_write2_b32 v105, v24, v26 offset1:135
	v_fma_f16 v24, v27, s0, v25
	v_fma_f16 v2, v23, s1, v2
	v_pack_b32_f16 v2, v24, v2
	v_lshrrev_b32_e32 v23, 16, v6
	ds_write_b32 v105, v2 offset:1080
	v_add_f16_e32 v2, v19, v22
	v_add_f16_e32 v24, v23, v20
	v_sub_f16_e32 v25, v20, v21
	v_add_f16_e32 v20, v20, v21
	v_fma_f16 v2, v2, -0.5, v6
	v_add_f16_e32 v6, v6, v19
	v_fma_f16 v20, v20, -0.5, v23
	v_sub_f16_e32 v19, v19, v22
	v_add_f16_e32 v24, v24, v21
	v_add_f16_e32 v6, v6, v22
	v_fma_f16 v21, v25, s1, v2
	v_fma_f16 v22, v19, s0, v20
	v_pack_b32_f16 v6, v6, v24
	v_pack_b32_f16 v21, v21, v22
	ds_write2_b32 v110, v6, v21 offset1:135
	v_fma_f16 v2, v25, s0, v2
	v_fma_f16 v6, v19, s1, v20
	v_pack_b32_f16 v2, v2, v6
	ds_write_b32 v110, v2 offset:1080
	v_lshrrev_b32_e32 v2, 16, v4
	v_add_f16_e32 v6, v2, v17
	v_add_f16_e32 v6, v6, v16
	v_sub_f16_e32 v19, v17, v16
	v_add_f16_e32 v16, v17, v16
	v_fma_f16 v2, v16, -0.5, v2
	v_add_f16_e32 v16, v4, v18
	v_add_f16_e32 v17, v18, v15
	;; [unrolled: 1-line block ×3, first 2 shown]
	v_sub_f16_e32 v15, v18, v15
	v_fma_f16 v4, v17, -0.5, v4
	v_pack_b32_f16 v6, v16, v6
	v_fma_f16 v16, v19, s1, v4
	v_fma_f16 v17, v15, s0, v2
	;; [unrolled: 1-line block ×4, first 2 shown]
	v_pack_b32_f16 v2, v4, v2
	v_pack_b32_f16 v16, v16, v17
	ds_write_b32 v112, v2 offset:1080
	v_add_f16_e32 v2, v11, v14
	v_lshrrev_b32_e32 v4, 16, v5
	ds_write2_b32 v112, v6, v16 offset1:135
	v_fma_f16 v2, v2, -0.5, v5
	v_add_f16_e32 v5, v5, v11
	v_add_f16_e32 v6, v4, v12
	v_sub_f16_e32 v15, v12, v13
	v_add_f16_e32 v12, v12, v13
	v_add_f16_e32 v6, v6, v13
	v_fma_f16 v4, v12, -0.5, v4
	v_add_f16_e32 v5, v5, v14
	v_sub_f16_e32 v11, v11, v14
	v_pack_b32_f16 v5, v5, v6
	v_fma_f16 v6, v15, s1, v2
	v_fma_f16 v12, v11, s0, v4
	v_pack_b32_f16 v6, v6, v12
	ds_write2_b32 v111, v5, v6 offset1:135
	v_add_f16_e32 v5, v10, v7
	v_fma_f16 v4, v11, s1, v4
	v_fma_f16 v5, v5, -0.5, v3
	v_lshrrev_b32_e32 v6, 16, v3
	v_sub_f16_e32 v11, v9, v8
	v_fma_f16 v12, v11, s1, v5
	v_fma_f16 v5, v11, s0, v5
	v_add_f16_e32 v11, v6, v9
	v_add_f16_e32 v3, v3, v10
	;; [unrolled: 1-line block ×4, first 2 shown]
	v_fma_f16 v2, v15, s0, v2
	v_fma_f16 v6, v8, -0.5, v6
	v_add_f16_e32 v3, v3, v7
	v_sub_f16_e32 v7, v10, v7
	v_fma_f16 v8, v7, s0, v6
	v_pack_b32_f16 v2, v2, v4
	v_fma_f16 v6, v7, s1, v6
	ds_write_b32 v111, v2 offset:1080
	v_pack_b32_f16 v2, v3, v11
	v_pack_b32_f16 v3, v12, v8
	ds_write2_b32 v113, v2, v3 offset1:135
	v_pack_b32_f16 v2, v5, v6
	ds_write_b32 v113, v2 offset:1080
	s_waitcnt lgkmcnt(0)
	s_barrier
	ds_read2_b32 v[2:3], v84 offset0:8 offset1:251
	ds_read_b32 v8, v64 offset:13608
	ds_read2_b32 v[4:5], v85 offset0:2 offset1:245
	ds_read2_b32 v[6:7], v83 offset0:4 offset1:247
	s_waitcnt lgkmcnt(3)
	v_lshrrev_b32_e32 v9, 16, v3
	s_waitcnt lgkmcnt(2)
	v_lshrrev_b32_e32 v10, 16, v8
	v_mul_f16_sdwa v11, v53, v10 dst_sel:DWORD dst_unused:UNUSED_PAD src0_sel:WORD_1 src1_sel:DWORD
	v_fma_f16 v11, v53, v8, v11
	v_mul_f16_sdwa v8, v53, v8 dst_sel:DWORD dst_unused:UNUSED_PAD src0_sel:WORD_1 src1_sel:DWORD
	v_fma_f16 v8, v53, v10, -v8
	v_mul_f16_sdwa v10, v52, v3 dst_sel:DWORD dst_unused:UNUSED_PAD src0_sel:WORD_1 src1_sel:DWORD
	v_fma_f16 v10, v52, v9, -v10
	v_mul_f16_sdwa v9, v52, v9 dst_sel:DWORD dst_unused:UNUSED_PAD src0_sel:WORD_1 src1_sel:DWORD
	v_fma_f16 v9, v52, v3, v9
	v_lshrrev_b32_e32 v3, 16, v2
	v_mul_f16_sdwa v12, v50, v3 dst_sel:DWORD dst_unused:UNUSED_PAD src0_sel:WORD_1 src1_sel:DWORD
	v_fma_f16 v12, v50, v2, v12
	v_mul_f16_sdwa v2, v50, v2 dst_sel:DWORD dst_unused:UNUSED_PAD src0_sel:WORD_1 src1_sel:DWORD
	s_waitcnt lgkmcnt(0)
	v_lshrrev_b32_e32 v13, 16, v7
	v_fma_f16 v14, v50, v3, -v2
	v_mul_f16_sdwa v2, v51, v7 dst_sel:DWORD dst_unused:UNUSED_PAD src0_sel:WORD_1 src1_sel:DWORD
	v_fma_f16 v15, v51, v13, -v2
	v_mul_f16_sdwa v2, v51, v13 dst_sel:DWORD dst_unused:UNUSED_PAD src0_sel:WORD_1 src1_sel:DWORD
	v_fma_f16 v7, v51, v7, v2
	v_lshrrev_b32_e32 v2, 16, v6
	v_mul_f16_sdwa v3, v49, v2 dst_sel:DWORD dst_unused:UNUSED_PAD src0_sel:WORD_1 src1_sel:DWORD
	v_fma_f16 v13, v49, v6, v3
	v_mul_f16_sdwa v3, v49, v6 dst_sel:DWORD dst_unused:UNUSED_PAD src0_sel:WORD_1 src1_sel:DWORD
	v_lshrrev_b32_e32 v6, 16, v5
	v_fma_f16 v16, v49, v2, -v3
	v_mul_f16_sdwa v2, v48, v5 dst_sel:DWORD dst_unused:UNUSED_PAD src0_sel:WORD_1 src1_sel:DWORD
	v_fma_f16 v17, v48, v6, -v2
	v_mul_f16_sdwa v2, v48, v6 dst_sel:DWORD dst_unused:UNUSED_PAD src0_sel:WORD_1 src1_sel:DWORD
	v_fma_f16 v18, v48, v5, v2
	ds_read2_b32 v[2:3], v76 offset0:6 offset1:249
	v_lshrrev_b32_e32 v5, 16, v4
	v_mul_f16_sdwa v6, v46, v5 dst_sel:DWORD dst_unused:UNUSED_PAD src0_sel:WORD_1 src1_sel:DWORD
	v_fma_f16 v19, v46, v4, v6
	v_mul_f16_sdwa v4, v46, v4 dst_sel:DWORD dst_unused:UNUSED_PAD src0_sel:WORD_1 src1_sel:DWORD
	v_fma_f16 v20, v46, v5, -v4
	s_waitcnt lgkmcnt(0)
	v_lshrrev_b32_e32 v4, 16, v3
	v_mul_f16_sdwa v5, v47, v3 dst_sel:DWORD dst_unused:UNUSED_PAD src0_sel:WORD_1 src1_sel:DWORD
	v_fma_f16 v21, v47, v4, -v5
	v_mul_f16_sdwa v4, v47, v4 dst_sel:DWORD dst_unused:UNUSED_PAD src0_sel:WORD_1 src1_sel:DWORD
	v_fma_f16 v22, v47, v3, v4
	ds_read2_b32 v[3:4], v78 offset0:12 offset1:255
	v_lshrrev_b32_e32 v5, 16, v2
	v_mul_f16_sdwa v6, v43, v5 dst_sel:DWORD dst_unused:UNUSED_PAD src0_sel:WORD_1 src1_sel:DWORD
	v_fma_f16 v23, v43, v2, v6
	v_mul_f16_sdwa v2, v43, v2 dst_sel:DWORD dst_unused:UNUSED_PAD src0_sel:WORD_1 src1_sel:DWORD
	v_fma_f16 v2, v43, v5, -v2
	ds_read2_b32 v[5:6], v64 offset1:243
	s_waitcnt lgkmcnt(1)
	v_lshrrev_b32_e32 v24, 16, v4
	v_mul_f16_sdwa v25, v42, v4 dst_sel:DWORD dst_unused:UNUSED_PAD src0_sel:WORD_1 src1_sel:DWORD
	v_fma_f16 v25, v42, v24, -v25
	v_mul_f16_sdwa v24, v42, v24 dst_sel:DWORD dst_unused:UNUSED_PAD src0_sel:WORD_1 src1_sel:DWORD
	v_fma_f16 v4, v42, v4, v24
	v_add_f16_e32 v24, v4, v23
	s_waitcnt lgkmcnt(0)
	v_fma_f16 v24, v24, -0.5, v5
	v_sub_f16_e32 v26, v25, v2
	v_fma_f16 v27, v26, s1, v24
	v_fma_f16 v24, v26, s0, v24
	v_lshrrev_b32_e32 v26, 16, v5
	v_add_f16_e32 v28, v26, v25
	v_add_f16_e32 v28, v28, v2
	;; [unrolled: 1-line block ×3, first 2 shown]
	v_fma_f16 v2, v2, -0.5, v26
	v_add_f16_e32 v5, v5, v4
	v_sub_f16_e32 v4, v4, v23
	v_add_f16_e32 v25, v5, v23
	v_fma_f16 v23, v4, s0, v2
	v_fma_f16 v2, v4, s1, v2
	v_add_f16_e32 v4, v19, v22
	v_fma_f16 v4, v4, -0.5, v6
	v_lshrrev_b32_e32 v5, 16, v6
	v_sub_f16_e32 v26, v20, v21
	v_fma_f16 v29, v26, s1, v4
	v_fma_f16 v26, v26, s0, v4
	v_add_f16_e32 v4, v5, v20
	v_add_f16_e32 v30, v4, v21
	;; [unrolled: 1-line block ×3, first 2 shown]
	v_fma_f16 v20, v4, -0.5, v5
	ds_read2_b32 v[4:5], v86 offset0:6 offset1:249
	v_add_f16_e32 v6, v6, v19
	v_sub_f16_e32 v19, v19, v22
	v_fma_f16 v21, v19, s0, v20
	v_fma_f16 v19, v19, s1, v20
	v_add_f16_e32 v20, v18, v13
	v_add_f16_e32 v6, v6, v22
	s_waitcnt lgkmcnt(0)
	v_fma_f16 v20, v20, -0.5, v4
	v_sub_f16_e32 v22, v17, v16
	v_fma_f16 v31, v22, s1, v20
	v_fma_f16 v20, v22, s0, v20
	v_lshrrev_b32_e32 v22, 16, v4
	v_add_f16_e32 v32, v22, v17
	v_add_f16_e32 v32, v32, v16
	;; [unrolled: 1-line block ×4, first 2 shown]
	v_fma_f16 v16, v16, -0.5, v22
	v_add_f16_e32 v4, v4, v13
	v_sub_f16_e32 v13, v18, v13
	v_fma_f16 v17, v13, s0, v16
	v_fma_f16 v13, v13, s1, v16
	v_add_f16_e32 v16, v12, v7
	v_fma_f16 v16, v16, -0.5, v5
	v_lshrrev_b32_e32 v18, 16, v5
	v_sub_f16_e32 v22, v14, v15
	v_add_f16_e32 v5, v5, v12
	v_fma_f16 v33, v22, s1, v16
	v_fma_f16 v16, v22, s0, v16
	v_add_f16_e32 v22, v18, v14
	v_add_f16_e32 v14, v14, v15
	v_fma_f16 v14, v14, -0.5, v18
	v_add_f16_e32 v5, v5, v7
	v_sub_f16_e32 v7, v12, v7
	v_fma_f16 v12, v7, s0, v14
	v_fma_f16 v7, v7, s1, v14
	v_add_f16_e32 v14, v9, v11
	v_add_f16_e32 v22, v22, v15
	v_fma_f16 v14, v14, -0.5, v3
	v_lshrrev_b32_e32 v15, 16, v3
	v_sub_f16_e32 v18, v10, v8
	v_fma_f16 v34, v18, s1, v14
	v_fma_f16 v14, v18, s0, v14
	v_add_f16_e32 v18, v15, v10
	v_add_f16_e32 v18, v18, v8
	;; [unrolled: 1-line block ×4, first 2 shown]
	v_fma_f16 v8, v8, -0.5, v15
	v_sub_f16_e32 v9, v9, v11
	v_fma_f16 v10, v9, s0, v8
	v_fma_f16 v8, v9, s1, v8
	v_pack_b32_f16 v9, v25, v28
	v_pack_b32_f16 v2, v24, v2
	s_barrier
	ds_write_b32 v64, v9
	v_pack_b32_f16 v9, v27, v23
	ds_write_b32 v64, v2 offset:3240
	v_pack_b32_f16 v2, v6, v30
	ds_write_b32 v64, v9 offset:1620
	ds_write_b32 v114, v2
	v_pack_b32_f16 v2, v29, v21
	ds_write_b32 v114, v2 offset:1620
	v_pack_b32_f16 v2, v26, v19
	ds_write_b32 v114, v2 offset:3240
	;; [unrolled: 2-line block ×5, first 2 shown]
	v_pack_b32_f16 v2, v5, v22
	ds_write_b32 v115, v2
	v_pack_b32_f16 v2, v33, v12
	v_add_f16_e32 v3, v3, v11
	ds_write_b32 v115, v2 offset:1620
	v_pack_b32_f16 v2, v16, v7
	ds_write_b32 v115, v2 offset:3240
	v_pack_b32_f16 v2, v3, v18
	;; [unrolled: 2-line block ×4, first 2 shown]
	ds_write_b32 v116, v2 offset:12960
	s_waitcnt lgkmcnt(0)
	s_barrier
	ds_read2_b32 v[2:3], v64 offset1:243
	ds_read2_b32 v[4:5], v78 offset0:12 offset1:255
	ds_read2_b32 v[6:7], v76 offset0:6 offset1:249
	;; [unrolled: 1-line block ×4, first 2 shown]
	ds_read_b32 v29, v64 offset:13608
	s_waitcnt lgkmcnt(4)
	v_lshrrev_b32_e32 v15, 16, v5
	v_mul_f16_sdwa v23, v60, v15 dst_sel:DWORD dst_unused:UNUSED_PAD src0_sel:WORD_1 src1_sel:DWORD
	v_fma_f16 v23, v60, v5, v23
	v_mul_f16_sdwa v5, v60, v5 dst_sel:DWORD dst_unused:UNUSED_PAD src0_sel:WORD_1 src1_sel:DWORD
	s_waitcnt lgkmcnt(3)
	v_lshrrev_b32_e32 v16, 16, v6
	s_waitcnt lgkmcnt(2)
	v_lshrrev_b32_e32 v21, 16, v9
	v_fma_f16 v15, v60, v15, -v5
	v_mul_f16_sdwa v5, v61, v6 dst_sel:DWORD dst_unused:UNUSED_PAD src0_sel:WORD_1 src1_sel:DWORD
	v_lshrrev_b32_e32 v19, 16, v7
	v_fma_f16 v24, v61, v16, -v5
	v_mul_f16_sdwa v5, v61, v16 dst_sel:DWORD dst_unused:UNUSED_PAD src0_sel:WORD_1 src1_sel:DWORD
	v_mul_f16_sdwa v26, v56, v21 dst_sel:DWORD dst_unused:UNUSED_PAD src0_sel:WORD_1 src1_sel:DWORD
	v_fma_f16 v16, v61, v6, v5
	v_mul_f16_sdwa v5, v59, v19 dst_sel:DWORD dst_unused:UNUSED_PAD src0_sel:WORD_1 src1_sel:DWORD
	v_fma_f16 v26, v56, v9, v26
	v_mul_f16_sdwa v9, v56, v9 dst_sel:DWORD dst_unused:UNUSED_PAD src0_sel:WORD_1 src1_sel:DWORD
	s_waitcnt lgkmcnt(1)
	v_lshrrev_b32_e32 v22, 16, v12
	v_fma_f16 v25, v59, v7, v5
	ds_read2_b32 v[5:6], v84 offset0:8 offset1:251
	v_fma_f16 v9, v56, v21, -v9
	v_mul_f16_sdwa v21, v57, v12 dst_sel:DWORD dst_unused:UNUSED_PAD src0_sel:WORD_1 src1_sel:DWORD
	v_fma_f16 v21, v57, v22, -v21
	v_mul_f16_sdwa v22, v57, v22 dst_sel:DWORD dst_unused:UNUSED_PAD src0_sel:WORD_1 src1_sel:DWORD
	v_fma_f16 v12, v57, v12, v22
	v_lshrrev_b32_e32 v22, 16, v13
	v_mul_f16_sdwa v28, v55, v22 dst_sel:DWORD dst_unused:UNUSED_PAD src0_sel:WORD_1 src1_sel:DWORD
	v_fma_f16 v28, v55, v13, v28
	v_mul_f16_sdwa v13, v55, v13 dst_sel:DWORD dst_unused:UNUSED_PAD src0_sel:WORD_1 src1_sel:DWORD
	s_waitcnt lgkmcnt(0)
	v_lshrrev_b32_e32 v27, 16, v5
	v_fma_f16 v13, v55, v22, -v13
	v_mul_f16_sdwa v22, v54, v5 dst_sel:DWORD dst_unused:UNUSED_PAD src0_sel:WORD_1 src1_sel:DWORD
	v_fma_f16 v22, v54, v27, -v22
	v_mul_f16_sdwa v27, v54, v27 dst_sel:DWORD dst_unused:UNUSED_PAD src0_sel:WORD_1 src1_sel:DWORD
	v_fma_f16 v5, v54, v5, v27
	v_lshrrev_b32_e32 v27, 16, v6
	v_mul_f16_sdwa v30, v62, v27 dst_sel:DWORD dst_unused:UNUSED_PAD src0_sel:WORD_1 src1_sel:DWORD
	v_fma_f16 v30, v62, v6, v30
	v_mul_f16_sdwa v6, v62, v6 dst_sel:DWORD dst_unused:UNUSED_PAD src0_sel:WORD_1 src1_sel:DWORD
	v_lshrrev_b32_e32 v31, 16, v29
	v_fma_f16 v6, v62, v27, -v6
	v_mul_f16_sdwa v27, v63, v31 dst_sel:DWORD dst_unused:UNUSED_PAD src0_sel:WORD_1 src1_sel:DWORD
	v_mul_f16_sdwa v7, v59, v7 dst_sel:DWORD dst_unused:UNUSED_PAD src0_sel:WORD_1 src1_sel:DWORD
	v_fma_f16 v27, v63, v29, v27
	v_mul_f16_sdwa v29, v63, v29 dst_sel:DWORD dst_unused:UNUSED_PAD src0_sel:WORD_1 src1_sel:DWORD
	v_lshrrev_b32_e32 v18, 16, v8
	v_fma_f16 v7, v59, v19, -v7
	v_mul_f16_sdwa v19, v58, v8 dst_sel:DWORD dst_unused:UNUSED_PAD src0_sel:WORD_1 src1_sel:DWORD
	v_fma_f16 v29, v63, v31, -v29
	v_add_f16_e32 v31, v23, v16
	v_lshrrev_b32_e32 v14, 16, v2
	v_fma_f16 v19, v58, v18, -v19
	v_mul_f16_sdwa v18, v58, v18 dst_sel:DWORD dst_unused:UNUSED_PAD src0_sel:WORD_1 src1_sel:DWORD
	v_fma_f16 v31, v31, -0.5, v2
	v_sub_f16_e32 v32, v15, v24
	v_fma_f16 v8, v58, v8, v18
	v_fma_f16 v33, v32, s1, v31
	;; [unrolled: 1-line block ×3, first 2 shown]
	v_add_f16_e32 v32, v14, v15
	v_add_f16_e32 v15, v15, v24
	;; [unrolled: 1-line block ×3, first 2 shown]
	v_fma_f16 v14, v15, -0.5, v14
	v_sub_f16_e32 v15, v23, v16
	v_add_f16_e32 v23, v8, v25
	ds_read2_b32 v[10:11], v86 offset0:6 offset1:249
	v_lshrrev_b32_e32 v17, 16, v3
	v_add_f16_e32 v2, v2, v16
	v_fma_f16 v16, v15, s0, v14
	v_fma_f16 v14, v15, s1, v14
	v_add_f16_e32 v15, v3, v8
	v_fma_f16 v3, v23, -0.5, v3
	v_sub_f16_e32 v23, v19, v7
	v_add_f16_e32 v32, v32, v24
	v_fma_f16 v24, v23, s1, v3
	v_fma_f16 v3, v23, s0, v3
	v_add_f16_e32 v23, v17, v19
	v_add_f16_e32 v23, v23, v7
	;; [unrolled: 1-line block ×3, first 2 shown]
	v_fma_f16 v7, v7, -0.5, v17
	v_sub_f16_e32 v8, v8, v25
	v_fma_f16 v17, v8, s0, v7
	v_fma_f16 v7, v8, s1, v7
	v_add_f16_e32 v8, v26, v12
	s_waitcnt lgkmcnt(0)
	v_lshrrev_b32_e32 v20, 16, v10
	v_fma_f16 v8, v8, -0.5, v10
	v_sub_f16_e32 v19, v9, v21
	v_add_f16_e32 v15, v15, v25
	v_fma_f16 v25, v19, s1, v8
	v_fma_f16 v8, v19, s0, v8
	v_add_f16_e32 v19, v20, v9
	v_add_f16_e32 v9, v9, v21
	;; [unrolled: 1-line block ×5, first 2 shown]
	v_fma_f16 v9, v9, -0.5, v20
	v_sub_f16_e32 v12, v26, v12
	v_add_f16_e32 v21, v5, v28
	v_lshrrev_b32_e32 v18, 16, v11
	v_fma_f16 v20, v12, s0, v9
	v_fma_f16 v9, v12, s1, v9
	v_add_f16_e32 v12, v11, v5
	v_fma_f16 v11, v21, -0.5, v11
	v_sub_f16_e32 v21, v22, v13
	v_fma_f16 v26, v21, s1, v11
	v_fma_f16 v11, v21, s0, v11
	v_add_f16_e32 v21, v18, v22
	v_add_f16_e32 v21, v21, v13
	;; [unrolled: 1-line block ×3, first 2 shown]
	v_pack_b32_f16 v14, v31, v14
	v_add_f16_e32 v12, v12, v28
	v_fma_f16 v13, v13, -0.5, v18
	v_sub_f16_e32 v5, v5, v28
	v_add_f16_e32 v28, v30, v27
	v_pack_b32_f16 v2, v2, v32
	v_pack_b32_f16 v16, v33, v16
	ds_write_b32 v64, v14 offset:9720
	v_pack_b32_f16 v14, v15, v23
	v_lshrrev_b32_e32 v22, 16, v4
	v_fma_f16 v18, v5, s0, v13
	v_fma_f16 v5, v5, s1, v13
	v_add_f16_e32 v13, v4, v30
	v_fma_f16 v4, v28, -0.5, v4
	v_sub_f16_e32 v28, v6, v29
	ds_write_b32 v64, v16 offset:4860
	ds_write2_b32 v64, v2, v14 offset1:243
	v_pack_b32_f16 v2, v24, v17
	v_pack_b32_f16 v3, v3, v7
	;; [unrolled: 1-line block ×4, first 2 shown]
	v_fma_f16 v34, v28, s1, v4
	v_fma_f16 v4, v28, s0, v4
	v_add_f16_e32 v28, v22, v6
	v_add_f16_e32 v6, v6, v29
	ds_write2_b32 v85, v2, v10 offset0:2 offset1:245
	v_pack_b32_f16 v2, v8, v9
	v_add_f16_e32 v13, v13, v27
	v_add_f16_e32 v28, v28, v29
	v_fma_f16 v6, v6, -0.5, v22
	v_sub_f16_e32 v22, v30, v27
	ds_write2_b32 v117, v3, v2 offset0:1 offset1:244
	v_pack_b32_f16 v2, v12, v21
	v_pack_b32_f16 v3, v11, v5
	v_fma_f16 v27, v22, s0, v6
	ds_write2_b32 v86, v7, v2 offset0:6 offset1:249
	ds_write_b32 v64, v3 offset:12636
	v_pack_b32_f16 v3, v13, v28
	v_fma_f16 v6, v22, s1, v6
	v_pack_b32_f16 v2, v26, v18
	ds_write_b32 v64, v3 offset:3888
	v_pack_b32_f16 v3, v34, v27
	ds_write2_b32 v84, v2, v3 offset0:8 offset1:251
	v_pack_b32_f16 v2, v4, v6
	ds_write_b32 v64, v2 offset:13608
	s_waitcnt lgkmcnt(0)
	s_barrier
	ds_read2_b32 v[2:3], v64 offset1:243
	s_waitcnt lgkmcnt(0)
	v_lshrrev_b32_e32 v10, 16, v2
	v_mul_f16_sdwa v4, v0, v10 dst_sel:DWORD dst_unused:UNUSED_PAD src0_sel:WORD_1 src1_sel:DWORD
	v_fma_f16 v4, v0, v2, v4
	v_cvt_f32_f16_e32 v6, v4
	v_mad_u64_u32 v[4:5], s[0:1], s10, v1, 0
	v_mul_f16_sdwa v2, v0, v2 dst_sel:DWORD dst_unused:UNUSED_PAD src0_sel:WORD_1 src1_sel:DWORD
	v_cvt_f64_f32_e32 v[6:7], v6
	v_fma_f16 v0, v0, v10, -v2
	v_cvt_f32_f16_e32 v0, v0
	s_movk_i32 s10, 0x40f
	v_mul_f64 v[6:7], v[6:7], s[2:3]
	v_mad_u64_u32 v[8:9], s[0:1], s11, v1, v[5:6]
	v_and_or_b32 v1, v7, s6, v6
	v_cmp_ne_u32_e32 vcc, 0, v1
	v_mov_b32_e32 v5, v8
	v_cndmask_b32_e64 v1, 0, 1, vcc
	v_lshrrev_b32_e32 v6, 8, v7
	v_bfe_u32 v8, v7, 20, 11
	v_and_or_b32 v6, v6, s7, v1
	v_sub_u32_e32 v9, 0x3f1, v8
	v_or_b32_e32 v1, 0x1000, v6
	v_med3_i32 v9, v9, 0, 13
	v_lshrrev_b32_e32 v11, v9, v1
	v_lshlrev_b32_e32 v9, v9, v11
	v_cmp_ne_u32_e32 vcc, v9, v1
	v_cndmask_b32_e64 v1, 0, 1, vcc
	v_add_u32_e32 v9, 0xfffffc10, v8
	v_or_b32_e32 v1, v11, v1
	v_lshl_or_b32 v8, v9, 12, v6
	v_cmp_gt_i32_e32 vcc, 1, v9
	v_cndmask_b32_e32 v1, v8, v1, vcc
	v_and_b32_e32 v8, 7, v1
	v_cmp_lt_i32_e32 vcc, 5, v8
	v_cmp_eq_u32_e64 s[0:1], 3, v8
	v_lshrrev_b32_e32 v1, 2, v1
	s_or_b64 vcc, s[0:1], vcc
	v_addc_co_u32_e32 v2, vcc, 0, v1, vcc
	v_cvt_f64_f32_e32 v[0:1], v0
	v_mov_b32_e32 v8, 0x7c00
	v_cmp_gt_i32_e32 vcc, 31, v9
	v_cndmask_b32_e32 v10, v8, v2, vcc
	v_mul_f64 v[1:2], v[0:1], s[2:3]
	v_cmp_ne_u32_e32 vcc, 0, v6
	v_cndmask_b32_e64 v6, 0, 1, vcc
	v_lshl_or_b32 v0, v6, 9, v8
	v_cmp_eq_u32_e32 vcc, s10, v9
	v_cndmask_b32_e32 v0, v10, v0, vcc
	v_lshrrev_b32_e32 v6, 16, v7
	s_mov_b32 s11, 0x8000
	v_and_or_b32 v11, v6, s11, v0
	v_and_or_b32 v0, v2, s6, v1
	v_cmp_ne_u32_e32 vcc, 0, v0
	v_cndmask_b32_e64 v0, 0, 1, vcc
	v_lshrrev_b32_e32 v1, 8, v2
	v_bfe_u32 v6, v2, 20, 11
	v_and_or_b32 v0, v1, s7, v0
	v_sub_u32_e32 v7, 0x3f1, v6
	v_or_b32_e32 v1, 0x1000, v0
	v_med3_i32 v7, v7, 0, 13
	v_lshrrev_b32_e32 v9, v7, v1
	v_lshlrev_b32_e32 v7, v7, v9
	v_cmp_ne_u32_e32 vcc, v7, v1
	v_cndmask_b32_e64 v1, 0, 1, vcc
	v_or_b32_e32 v1, v9, v1
	v_add_u32_e32 v9, 0xfffffc10, v6
	v_lshl_or_b32 v6, v9, 12, v0
	v_cmp_gt_i32_e32 vcc, 1, v9
	v_cndmask_b32_e32 v1, v6, v1, vcc
	v_and_b32_e32 v6, 7, v1
	v_cmp_lt_i32_e32 vcc, 5, v6
	v_cmp_eq_u32_e64 s[0:1], 3, v6
	v_lshrrev_b32_e32 v1, 2, v1
	s_or_b64 vcc, s[0:1], vcc
	v_addc_co_u32_e32 v1, vcc, 0, v1, vcc
	v_cmp_gt_i32_e32 vcc, 31, v9
	v_cndmask_b32_e32 v1, v8, v1, vcc
	v_cmp_ne_u32_e32 vcc, 0, v0
	v_cndmask_b32_e64 v0, 0, 1, vcc
	v_lshl_or_b32 v0, v0, 9, v8
	v_cmp_eq_u32_e32 vcc, s10, v9
	v_mad_u64_u32 v[6:7], s[0:1], s8, v81, 0
	v_cndmask_b32_e32 v12, v1, v0, vcc
	ds_read2_b32 v[0:1], v86 offset0:6 offset1:249
	v_lshrrev_b32_e32 v13, 16, v2
	v_mov_b32_e32 v2, v7
	v_mad_u64_u32 v[9:10], s[0:1], s9, v81, v[2:3]
	s_waitcnt lgkmcnt(0)
	v_lshrrev_b32_e32 v2, 16, v1
	v_mul_f16_sdwa v7, v80, v2 dst_sel:DWORD dst_unused:UNUSED_PAD src0_sel:WORD_1 src1_sel:DWORD
	v_fma_f16 v7, v80, v1, v7
	v_cvt_f32_f16_e32 v10, v7
	v_mov_b32_e32 v7, v9
	v_lshlrev_b64 v[4:5], 2, v[4:5]
	v_and_or_b32 v12, v13, s11, v12
	v_cvt_f64_f32_e32 v[9:10], v10
	v_and_b32_e32 v11, 0xffff, v11
	v_lshl_or_b32 v11, v12, 16, v11
	v_mov_b32_e32 v12, s5
	v_mul_f64 v[9:10], v[9:10], s[2:3]
	v_add_co_u32_e32 v13, vcc, s4, v4
	v_addc_co_u32_e32 v12, vcc, v12, v5, vcc
	v_lshlrev_b64 v[4:5], 2, v[6:7]
	v_mul_f16_sdwa v1, v80, v1 dst_sel:DWORD dst_unused:UNUSED_PAD src0_sel:WORD_1 src1_sel:DWORD
	v_add_co_u32_e32 v6, vcc, v13, v4
	v_addc_co_u32_e32 v7, vcc, v12, v5, vcc
	v_and_or_b32 v4, v10, s6, v9
	v_cmp_ne_u32_e32 vcc, 0, v4
	v_fma_f16 v1, v80, v2, -v1
	v_cndmask_b32_e64 v4, 0, 1, vcc
	v_lshrrev_b32_e32 v5, 8, v10
	v_bfe_u32 v9, v10, 20, 11
	v_cvt_f32_f16_e32 v1, v1
	global_store_dword v[6:7], v11, off
	v_and_or_b32 v4, v5, s7, v4
	v_sub_u32_e32 v11, 0x3f1, v9
	v_or_b32_e32 v5, 0x1000, v4
	v_med3_i32 v11, v11, 0, 13
	v_lshrrev_b32_e32 v12, v11, v5
	v_lshlrev_b32_e32 v11, v11, v12
	v_cvt_f64_f32_e32 v[1:2], v1
	v_cmp_ne_u32_e32 vcc, v11, v5
	v_cndmask_b32_e64 v5, 0, 1, vcc
	v_add_u32_e32 v9, 0xfffffc10, v9
	v_or_b32_e32 v5, v12, v5
	v_lshl_or_b32 v11, v9, 12, v4
	v_cmp_gt_i32_e32 vcc, 1, v9
	v_cndmask_b32_e32 v5, v11, v5, vcc
	v_mul_f64 v[1:2], v[1:2], s[2:3]
	v_and_b32_e32 v11, 7, v5
	v_cmp_lt_i32_e32 vcc, 5, v11
	v_cmp_eq_u32_e64 s[0:1], 3, v11
	v_lshrrev_b32_e32 v5, 2, v5
	s_or_b64 vcc, s[0:1], vcc
	v_addc_co_u32_e32 v5, vcc, 0, v5, vcc
	v_cmp_gt_i32_e32 vcc, 31, v9
	v_cndmask_b32_e32 v5, v8, v5, vcc
	v_cmp_ne_u32_e32 vcc, 0, v4
	v_cndmask_b32_e64 v4, 0, 1, vcc
	v_lshl_or_b32 v4, v4, 9, v8
	v_cmp_eq_u32_e32 vcc, s10, v9
	v_and_or_b32 v1, v2, s6, v1
	v_cndmask_b32_e32 v4, v5, v4, vcc
	v_lshrrev_b32_e32 v5, 16, v10
	v_cmp_ne_u32_e32 vcc, 0, v1
	v_and_or_b32 v9, v5, s11, v4
	v_cndmask_b32_e64 v1, 0, 1, vcc
	v_lshrrev_b32_e32 v4, 8, v2
	v_bfe_u32 v5, v2, 20, 11
	v_and_or_b32 v1, v4, s7, v1
	v_sub_u32_e32 v10, 0x3f1, v5
	v_or_b32_e32 v4, 0x1000, v1
	v_med3_i32 v10, v10, 0, 13
	v_lshrrev_b32_e32 v11, v10, v4
	v_lshlrev_b32_e32 v10, v10, v11
	v_cmp_ne_u32_e32 vcc, v10, v4
	v_cndmask_b32_e64 v4, 0, 1, vcc
	v_add_u32_e32 v10, 0xfffffc10, v5
	v_or_b32_e32 v4, v11, v4
	v_lshl_or_b32 v5, v10, 12, v1
	v_cmp_gt_i32_e32 vcc, 1, v10
	v_cndmask_b32_e32 v4, v5, v4, vcc
	v_and_b32_e32 v5, 7, v4
	v_cmp_lt_i32_e32 vcc, 5, v5
	v_cmp_eq_u32_e64 s[0:1], 3, v5
	v_lshrrev_b32_e32 v4, 2, v4
	s_or_b64 vcc, s[0:1], vcc
	v_addc_co_u32_e32 v4, vcc, 0, v4, vcc
	v_cmp_gt_i32_e32 vcc, 31, v10
	v_cndmask_b32_e32 v11, v8, v4, vcc
	ds_read2_b32 v[4:5], v85 offset0:2 offset1:245
	v_cmp_ne_u32_e32 vcc, 0, v1
	v_cndmask_b32_e64 v1, 0, 1, vcc
	v_lshl_or_b32 v1, v1, 9, v8
	v_cmp_eq_u32_e32 vcc, s10, v10
	s_waitcnt lgkmcnt(0)
	v_lshrrev_b32_e32 v10, 16, v4
	v_cndmask_b32_e32 v1, v11, v1, vcc
	v_mul_f16_sdwa v11, v82, v10 dst_sel:DWORD dst_unused:UNUSED_PAD src0_sel:WORD_1 src1_sel:DWORD
	v_fma_f16 v11, v82, v4, v11
	v_cvt_f32_f16_e32 v11, v11
	v_lshrrev_b32_e32 v2, 16, v2
	v_and_or_b32 v1, v2, s11, v1
	v_and_b32_e32 v2, 0xffff, v9
	v_lshl_or_b32 v9, v1, 16, v2
	v_cvt_f64_f32_e32 v[1:2], v11
	s_mul_i32 s0, s9, 0xb64
	s_mul_hi_u32 s4, s8, 0xb64
	s_add_i32 s4, s4, s0
	v_mul_f64 v[1:2], v[1:2], s[2:3]
	s_mul_i32 s5, s8, 0xb64
	v_mov_b32_e32 v11, s4
	v_add_co_u32_e32 v6, vcc, s5, v6
	v_addc_co_u32_e32 v7, vcc, v7, v11, vcc
	global_store_dword v[6:7], v9, off
	v_and_or_b32 v1, v2, s6, v1
	v_cmp_ne_u32_e32 vcc, 0, v1
	v_cndmask_b32_e64 v1, 0, 1, vcc
	v_lshrrev_b32_e32 v9, 8, v2
	v_bfe_u32 v11, v2, 20, 11
	v_and_or_b32 v1, v9, s7, v1
	v_sub_u32_e32 v12, 0x3f1, v11
	v_or_b32_e32 v9, 0x1000, v1
	v_med3_i32 v12, v12, 0, 13
	v_lshrrev_b32_e32 v13, v12, v9
	v_lshlrev_b32_e32 v12, v12, v13
	v_mul_f16_sdwa v4, v82, v4 dst_sel:DWORD dst_unused:UNUSED_PAD src0_sel:WORD_1 src1_sel:DWORD
	v_cmp_ne_u32_e32 vcc, v12, v9
	v_fma_f16 v4, v82, v10, -v4
	v_cndmask_b32_e64 v9, 0, 1, vcc
	v_add_u32_e32 v11, 0xfffffc10, v11
	v_cvt_f32_f16_e32 v4, v4
	v_or_b32_e32 v9, v13, v9
	v_lshl_or_b32 v12, v11, 12, v1
	v_cmp_gt_i32_e32 vcc, 1, v11
	v_cndmask_b32_e32 v9, v12, v9, vcc
	v_and_b32_e32 v12, 7, v9
	v_cmp_lt_i32_e32 vcc, 5, v12
	v_cmp_eq_u32_e64 s[0:1], 3, v12
	v_lshrrev_b32_e32 v12, 2, v9
	v_cvt_f64_f32_e32 v[9:10], v4
	s_or_b64 vcc, s[0:1], vcc
	v_addc_co_u32_e32 v4, vcc, 0, v12, vcc
	v_mul_f64 v[9:10], v[9:10], s[2:3]
	v_cmp_gt_i32_e32 vcc, 31, v11
	v_cndmask_b32_e32 v4, v8, v4, vcc
	v_cmp_ne_u32_e32 vcc, 0, v1
	v_cndmask_b32_e64 v1, 0, 1, vcc
	v_lshl_or_b32 v1, v1, 9, v8
	v_cmp_eq_u32_e32 vcc, s10, v11
	v_cndmask_b32_e32 v1, v4, v1, vcc
	v_lshrrev_b32_e32 v2, 16, v2
	v_and_or_b32 v4, v2, s11, v1
	v_and_or_b32 v1, v10, s6, v9
	v_cmp_ne_u32_e32 vcc, 0, v1
	v_cndmask_b32_e64 v1, 0, 1, vcc
	v_lshrrev_b32_e32 v2, 8, v10
	v_and_or_b32 v9, v2, s7, v1
	v_bfe_u32 v2, v10, 20, 11
	v_sub_u32_e32 v11, 0x3f1, v2
	v_or_b32_e32 v1, 0x1000, v9
	v_med3_i32 v11, v11, 0, 13
	v_lshrrev_b32_e32 v12, v11, v1
	v_lshlrev_b32_e32 v11, v11, v12
	v_cmp_ne_u32_e32 vcc, v11, v1
	v_cndmask_b32_e64 v1, 0, 1, vcc
	v_add_u32_e32 v11, 0xfffffc10, v2
	v_or_b32_e32 v1, v12, v1
	v_lshl_or_b32 v2, v11, 12, v9
	v_cmp_gt_i32_e32 vcc, 1, v11
	v_cndmask_b32_e32 v1, v2, v1, vcc
	v_and_b32_e32 v2, 7, v1
	v_cmp_lt_i32_e32 vcc, 5, v2
	v_cmp_eq_u32_e64 s[0:1], 3, v2
	v_lshrrev_b32_e32 v1, 2, v1
	s_or_b64 vcc, s[0:1], vcc
	v_addc_co_u32_e32 v12, vcc, 0, v1, vcc
	ds_read2_b32 v[1:2], v84 offset0:8 offset1:251
	v_cmp_gt_i32_e32 vcc, 31, v11
	v_cndmask_b32_e32 v12, v8, v12, vcc
	v_cmp_ne_u32_e32 vcc, 0, v9
	v_cndmask_b32_e64 v9, 0, 1, vcc
	s_waitcnt lgkmcnt(0)
	v_lshrrev_b32_e32 v13, 16, v2
	v_mul_f16_sdwa v14, v79, v13 dst_sel:DWORD dst_unused:UNUSED_PAD src0_sel:WORD_1 src1_sel:DWORD
	v_fma_f16 v14, v79, v2, v14
	v_cvt_f32_f16_e32 v14, v14
	v_lshl_or_b32 v9, v9, 9, v8
	v_cmp_eq_u32_e32 vcc, s10, v11
	v_cndmask_b32_e32 v9, v12, v9, vcc
	v_cvt_f64_f32_e32 v[11:12], v14
	v_lshrrev_b32_e32 v10, 16, v10
	v_and_or_b32 v14, v10, s11, v9
	v_and_b32_e32 v4, 0xffff, v4
	v_mul_f64 v[9:10], v[11:12], s[2:3]
	v_mov_b32_e32 v12, s4
	v_add_co_u32_e32 v11, vcc, s5, v6
	v_lshl_or_b32 v4, v14, 16, v4
	v_addc_co_u32_e32 v12, vcc, v7, v12, vcc
	global_store_dword v[11:12], v4, off
	v_and_or_b32 v4, v10, s6, v9
	v_cmp_ne_u32_e32 vcc, 0, v4
	v_cndmask_b32_e64 v4, 0, 1, vcc
	v_lshrrev_b32_e32 v6, 8, v10
	v_bfe_u32 v7, v10, 20, 11
	v_and_or_b32 v4, v6, s7, v4
	v_sub_u32_e32 v9, 0x3f1, v7
	v_or_b32_e32 v6, 0x1000, v4
	v_med3_i32 v9, v9, 0, 13
	v_lshrrev_b32_e32 v14, v9, v6
	v_lshlrev_b32_e32 v9, v9, v14
	v_mul_f16_sdwa v2, v79, v2 dst_sel:DWORD dst_unused:UNUSED_PAD src0_sel:WORD_1 src1_sel:DWORD
	v_cmp_ne_u32_e32 vcc, v9, v6
	v_fma_f16 v2, v79, v13, -v2
	v_cndmask_b32_e64 v6, 0, 1, vcc
	v_add_u32_e32 v9, 0xfffffc10, v7
	v_cvt_f32_f16_e32 v2, v2
	v_or_b32_e32 v6, v14, v6
	v_lshl_or_b32 v7, v9, 12, v4
	v_cmp_gt_i32_e32 vcc, 1, v9
	v_cndmask_b32_e32 v6, v7, v6, vcc
	v_and_b32_e32 v7, 7, v6
	v_cmp_lt_i32_e32 vcc, 5, v7
	v_cmp_eq_u32_e64 s[0:1], 3, v7
	v_lshrrev_b32_e32 v13, 2, v6
	v_cvt_f64_f32_e32 v[6:7], v2
	s_or_b64 vcc, s[0:1], vcc
	v_addc_co_u32_e32 v2, vcc, 0, v13, vcc
	v_mul_f64 v[13:14], v[6:7], s[2:3]
	v_cmp_gt_i32_e32 vcc, 31, v9
	v_cndmask_b32_e32 v2, v8, v2, vcc
	v_cmp_ne_u32_e32 vcc, 0, v4
	v_cndmask_b32_e64 v4, 0, 1, vcc
	v_lshl_or_b32 v4, v4, 9, v8
	v_cmp_eq_u32_e32 vcc, s10, v9
	v_cndmask_b32_e32 v2, v2, v4, vcc
	v_lshrrev_b32_e32 v4, 16, v10
	v_and_or_b32 v2, v4, s11, v2
	v_and_or_b32 v4, v14, s6, v13
	v_cmp_ne_u32_e32 vcc, 0, v4
	v_cndmask_b32_e64 v4, 0, 1, vcc
	v_lshrrev_b32_e32 v6, 8, v14
	v_bfe_u32 v7, v14, 20, 11
	v_and_or_b32 v4, v6, s7, v4
	v_sub_u32_e32 v9, 0x3f1, v7
	v_or_b32_e32 v6, 0x1000, v4
	v_med3_i32 v9, v9, 0, 13
	v_lshrrev_b32_e32 v10, v9, v6
	v_lshlrev_b32_e32 v9, v9, v10
	v_cmp_ne_u32_e32 vcc, v9, v6
	v_cndmask_b32_e64 v6, 0, 1, vcc
	v_add_u32_e32 v9, 0xfffffc10, v7
	v_or_b32_e32 v6, v10, v6
	v_lshl_or_b32 v7, v9, 12, v4
	v_cmp_gt_i32_e32 vcc, 1, v9
	v_cndmask_b32_e32 v6, v7, v6, vcc
	v_and_b32_e32 v7, 7, v6
	v_cmp_lt_i32_e32 vcc, 5, v7
	v_cmp_eq_u32_e64 s[0:1], 3, v7
	v_lshrrev_b32_e32 v6, 2, v6
	s_or_b64 vcc, s[0:1], vcc
	v_addc_co_u32_e32 v10, vcc, 0, v6, vcc
	ds_read2_b32 v[6:7], v83 offset0:4 offset1:247
	v_cmp_gt_i32_e32 vcc, 31, v9
	v_cndmask_b32_e32 v10, v8, v10, vcc
	v_cmp_ne_u32_e32 vcc, 0, v4
	v_cndmask_b32_e64 v4, 0, 1, vcc
	s_waitcnt lgkmcnt(0)
	v_lshrrev_b32_e32 v13, 16, v6
	v_mul_f16_sdwa v15, v77, v13 dst_sel:DWORD dst_unused:UNUSED_PAD src0_sel:WORD_1 src1_sel:DWORD
	v_fma_f16 v15, v77, v6, v15
	v_cvt_f32_f16_e32 v15, v15
	v_lshl_or_b32 v4, v4, 9, v8
	v_cmp_eq_u32_e32 vcc, s10, v9
	v_cndmask_b32_e32 v4, v10, v4, vcc
	v_cvt_f64_f32_e32 v[9:10], v15
	v_lshrrev_b32_e32 v14, 16, v14
	v_and_or_b32 v4, v14, s11, v4
	v_and_b32_e32 v2, 0xffff, v2
	v_mul_f64 v[9:10], v[9:10], s[2:3]
	v_lshl_or_b32 v2, v4, 16, v2
	v_mov_b32_e32 v4, s4
	v_add_co_u32_e32 v11, vcc, s5, v11
	v_addc_co_u32_e32 v12, vcc, v12, v4, vcc
	global_store_dword v[11:12], v2, off
	v_and_or_b32 v2, v10, s6, v9
	v_cmp_ne_u32_e32 vcc, 0, v2
	v_cndmask_b32_e64 v2, 0, 1, vcc
	v_lshrrev_b32_e32 v4, 8, v10
	v_bfe_u32 v9, v10, 20, 11
	v_and_or_b32 v2, v4, s7, v2
	v_sub_u32_e32 v14, 0x3f1, v9
	v_or_b32_e32 v4, 0x1000, v2
	v_med3_i32 v14, v14, 0, 13
	v_lshrrev_b32_e32 v15, v14, v4
	v_lshlrev_b32_e32 v14, v14, v15
	v_mul_f16_sdwa v6, v77, v6 dst_sel:DWORD dst_unused:UNUSED_PAD src0_sel:WORD_1 src1_sel:DWORD
	v_cmp_ne_u32_e32 vcc, v14, v4
	v_fma_f16 v6, v77, v13, -v6
	v_cndmask_b32_e64 v4, 0, 1, vcc
	v_add_u32_e32 v9, 0xfffffc10, v9
	v_cvt_f32_f16_e32 v6, v6
	v_or_b32_e32 v4, v15, v4
	v_lshl_or_b32 v14, v9, 12, v2
	v_cmp_gt_i32_e32 vcc, 1, v9
	v_cndmask_b32_e32 v4, v14, v4, vcc
	v_and_b32_e32 v14, 7, v4
	v_cmp_lt_i32_e32 vcc, 5, v14
	v_cmp_eq_u32_e64 s[0:1], 3, v14
	v_cvt_f64_f32_e32 v[13:14], v6
	v_lshrrev_b32_e32 v4, 2, v4
	s_or_b64 vcc, s[0:1], vcc
	v_addc_co_u32_e32 v4, vcc, 0, v4, vcc
	v_mul_f64 v[13:14], v[13:14], s[2:3]
	v_cmp_gt_i32_e32 vcc, 31, v9
	v_cndmask_b32_e32 v4, v8, v4, vcc
	v_cmp_ne_u32_e32 vcc, 0, v2
	v_cndmask_b32_e64 v2, 0, 1, vcc
	v_lshl_or_b32 v2, v2, 9, v8
	v_cmp_eq_u32_e32 vcc, s10, v9
	v_cndmask_b32_e32 v2, v4, v2, vcc
	v_lshrrev_b32_e32 v4, 16, v10
	v_and_or_b32 v2, v4, s11, v2
	v_and_or_b32 v4, v14, s6, v13
	v_cmp_ne_u32_e32 vcc, 0, v4
	v_cndmask_b32_e64 v4, 0, 1, vcc
	v_lshrrev_b32_e32 v6, 8, v14
	v_bfe_u32 v9, v14, 20, 11
	v_and_or_b32 v4, v6, s7, v4
	v_sub_u32_e32 v10, 0x3f1, v9
	v_or_b32_e32 v6, 0x1000, v4
	v_med3_i32 v10, v10, 0, 13
	v_lshrrev_b32_e32 v13, v10, v6
	v_lshlrev_b32_e32 v10, v10, v13
	v_cmp_ne_u32_e32 vcc, v10, v6
	v_cndmask_b32_e64 v6, 0, 1, vcc
	v_add_u32_e32 v9, 0xfffffc10, v9
	v_or_b32_e32 v6, v13, v6
	v_lshl_or_b32 v10, v9, 12, v4
	v_cmp_gt_i32_e32 vcc, 1, v9
	v_cndmask_b32_e32 v6, v10, v6, vcc
	v_and_b32_e32 v10, 7, v6
	v_lshrrev_b32_e32 v13, 16, v3
	v_cmp_lt_i32_e32 vcc, 5, v10
	v_cmp_eq_u32_e64 s[0:1], 3, v10
	v_mul_f16_sdwa v10, v75, v13 dst_sel:DWORD dst_unused:UNUSED_PAD src0_sel:WORD_1 src1_sel:DWORD
	v_fma_f16 v10, v75, v3, v10
	v_lshrrev_b32_e32 v6, 2, v6
	s_or_b64 vcc, s[0:1], vcc
	v_cvt_f32_f16_e32 v10, v10
	v_addc_co_u32_e32 v6, vcc, 0, v6, vcc
	v_cmp_gt_i32_e32 vcc, 31, v9
	v_cndmask_b32_e32 v6, v8, v6, vcc
	v_cmp_ne_u32_e32 vcc, 0, v4
	v_cndmask_b32_e64 v4, 0, 1, vcc
	v_cmp_eq_u32_e32 vcc, s10, v9
	v_cvt_f64_f32_e32 v[9:10], v10
	v_lshl_or_b32 v4, v4, 9, v8
	v_cndmask_b32_e32 v4, v6, v4, vcc
	v_lshrrev_b32_e32 v6, 16, v14
	v_mul_f64 v[9:10], v[9:10], s[2:3]
	v_and_or_b32 v4, v6, s11, v4
	v_and_b32_e32 v2, 0xffff, v2
	v_lshl_or_b32 v2, v4, 16, v2
	v_mov_b32_e32 v4, s4
	v_add_co_u32_e32 v11, vcc, s5, v11
	v_addc_co_u32_e32 v12, vcc, v12, v4, vcc
	global_store_dword v[11:12], v2, off
	v_and_or_b32 v2, v10, s6, v9
	v_cmp_ne_u32_e32 vcc, 0, v2
	v_cndmask_b32_e64 v2, 0, 1, vcc
	v_lshrrev_b32_e32 v4, 8, v10
	v_and_or_b32 v6, v4, s7, v2
	v_bfe_u32 v4, v10, 20, 11
	v_sub_u32_e32 v9, 0x3f1, v4
	v_or_b32_e32 v2, 0x1000, v6
	v_med3_i32 v9, v9, 0, 13
	v_lshrrev_b32_e32 v14, v9, v2
	v_lshlrev_b32_e32 v9, v9, v14
	v_mul_f16_sdwa v3, v75, v3 dst_sel:DWORD dst_unused:UNUSED_PAD src0_sel:WORD_1 src1_sel:DWORD
	v_cmp_ne_u32_e32 vcc, v9, v2
	v_fma_f16 v3, v75, v13, -v3
	v_cndmask_b32_e64 v2, 0, 1, vcc
	v_add_u32_e32 v9, 0xfffffc10, v4
	v_cvt_f32_f16_e32 v3, v3
	v_or_b32_e32 v2, v14, v2
	v_lshl_or_b32 v4, v9, 12, v6
	v_cmp_gt_i32_e32 vcc, 1, v9
	v_cndmask_b32_e32 v2, v4, v2, vcc
	v_and_b32_e32 v4, 7, v2
	v_cmp_lt_i32_e32 vcc, 5, v4
	v_cmp_eq_u32_e64 s[0:1], 3, v4
	v_lshrrev_b32_e32 v4, 2, v2
	v_cvt_f64_f32_e32 v[2:3], v3
	s_or_b64 vcc, s[0:1], vcc
	v_addc_co_u32_e32 v4, vcc, 0, v4, vcc
	v_cmp_gt_i32_e32 vcc, 31, v9
	v_cndmask_b32_e32 v13, v8, v4, vcc
	v_mul_f64 v[3:4], v[2:3], s[2:3]
	v_cmp_ne_u32_e32 vcc, 0, v6
	v_cndmask_b32_e64 v2, 0, 1, vcc
	v_lshl_or_b32 v2, v2, 9, v8
	v_cmp_eq_u32_e32 vcc, s10, v9
	v_cndmask_b32_e32 v2, v13, v2, vcc
	v_lshrrev_b32_e32 v6, 16, v10
	v_and_or_b32 v6, v6, s11, v2
	v_and_or_b32 v2, v4, s6, v3
	v_cmp_ne_u32_e32 vcc, 0, v2
	v_cndmask_b32_e64 v2, 0, 1, vcc
	v_lshrrev_b32_e32 v3, 8, v4
	v_and_or_b32 v9, v3, s7, v2
	v_bfe_u32 v3, v4, 20, 11
	v_sub_u32_e32 v10, 0x3f1, v3
	v_or_b32_e32 v2, 0x1000, v9
	v_med3_i32 v10, v10, 0, 13
	v_lshrrev_b32_e32 v13, v10, v2
	v_lshlrev_b32_e32 v10, v10, v13
	v_cmp_ne_u32_e32 vcc, v10, v2
	v_cndmask_b32_e64 v2, 0, 1, vcc
	v_add_u32_e32 v10, 0xfffffc10, v3
	v_or_b32_e32 v2, v13, v2
	v_lshl_or_b32 v3, v10, 12, v9
	v_cmp_gt_i32_e32 vcc, 1, v10
	v_cndmask_b32_e32 v2, v3, v2, vcc
	v_and_b32_e32 v3, 7, v2
	v_cmp_lt_i32_e32 vcc, 5, v3
	v_cmp_eq_u32_e64 s[0:1], 3, v3
	v_lshrrev_b32_e32 v2, 2, v2
	s_or_b64 vcc, s[0:1], vcc
	v_addc_co_u32_e32 v13, vcc, 0, v2, vcc
	ds_read2_b32 v[2:3], v78 offset0:12 offset1:255
	v_cmp_gt_i32_e32 vcc, 31, v10
	v_cndmask_b32_e32 v13, v8, v13, vcc
	v_cmp_ne_u32_e32 vcc, 0, v9
	v_cndmask_b32_e64 v9, 0, 1, vcc
	s_waitcnt lgkmcnt(0)
	v_lshrrev_b32_e32 v14, 16, v2
	v_mul_f16_sdwa v15, v73, v14 dst_sel:DWORD dst_unused:UNUSED_PAD src0_sel:WORD_1 src1_sel:DWORD
	v_fma_f16 v15, v73, v2, v15
	v_cvt_f32_f16_e32 v15, v15
	v_lshl_or_b32 v9, v9, 9, v8
	v_cmp_eq_u32_e32 vcc, s10, v10
	v_cndmask_b32_e32 v13, v13, v9, vcc
	v_cvt_f64_f32_e32 v[9:10], v15
	v_mad_u64_u32 v[11:12], s[0:1], s8, v67, v[11:12]
	v_lshrrev_b32_e32 v4, 16, v4
	v_mul_f64 v[9:10], v[9:10], s[2:3]
	s_mul_i32 s0, s9, 0xffffd63c
	v_and_or_b32 v4, v4, s11, v13
	v_and_b32_e32 v6, 0xffff, v6
	s_sub_i32 s9, s0, s8
	v_lshl_or_b32 v4, v4, 16, v6
	v_add_u32_e32 v12, s9, v12
	global_store_dword v[11:12], v4, off
	v_and_or_b32 v4, v10, s6, v9
	v_cmp_ne_u32_e32 vcc, 0, v4
	v_cndmask_b32_e64 v4, 0, 1, vcc
	v_lshrrev_b32_e32 v6, 8, v10
	v_bfe_u32 v9, v10, 20, 11
	v_and_or_b32 v4, v6, s7, v4
	v_sub_u32_e32 v13, 0x3f1, v9
	v_or_b32_e32 v6, 0x1000, v4
	v_med3_i32 v13, v13, 0, 13
	v_lshrrev_b32_e32 v15, v13, v6
	v_lshlrev_b32_e32 v13, v13, v15
	v_mul_f16_sdwa v2, v73, v2 dst_sel:DWORD dst_unused:UNUSED_PAD src0_sel:WORD_1 src1_sel:DWORD
	v_cmp_ne_u32_e32 vcc, v13, v6
	v_fma_f16 v2, v73, v14, -v2
	v_cndmask_b32_e64 v6, 0, 1, vcc
	v_add_u32_e32 v9, 0xfffffc10, v9
	v_cvt_f32_f16_e32 v2, v2
	v_or_b32_e32 v6, v15, v6
	v_lshl_or_b32 v13, v9, 12, v4
	v_cmp_gt_i32_e32 vcc, 1, v9
	v_cndmask_b32_e32 v6, v13, v6, vcc
	v_and_b32_e32 v13, 7, v6
	v_cmp_lt_i32_e32 vcc, 5, v13
	v_cmp_eq_u32_e64 s[0:1], 3, v13
	v_cvt_f64_f32_e32 v[13:14], v2
	v_lshrrev_b32_e32 v6, 2, v6
	s_or_b64 vcc, s[0:1], vcc
	v_addc_co_u32_e32 v2, vcc, 0, v6, vcc
	v_mul_f64 v[13:14], v[13:14], s[2:3]
	v_cmp_gt_i32_e32 vcc, 31, v9
	v_cndmask_b32_e32 v2, v8, v2, vcc
	v_cmp_ne_u32_e32 vcc, 0, v4
	v_cndmask_b32_e64 v4, 0, 1, vcc
	v_lshl_or_b32 v4, v4, 9, v8
	v_cmp_eq_u32_e32 vcc, s10, v9
	v_cndmask_b32_e32 v2, v2, v4, vcc
	v_lshrrev_b32_e32 v4, 16, v10
	v_and_or_b32 v2, v4, s11, v2
	v_and_or_b32 v4, v14, s6, v13
	v_cmp_ne_u32_e32 vcc, 0, v4
	v_cndmask_b32_e64 v4, 0, 1, vcc
	v_lshrrev_b32_e32 v6, 8, v14
	v_bfe_u32 v9, v14, 20, 11
	v_and_or_b32 v4, v6, s7, v4
	v_sub_u32_e32 v10, 0x3f1, v9
	v_or_b32_e32 v6, 0x1000, v4
	v_med3_i32 v10, v10, 0, 13
	v_lshrrev_b32_e32 v13, v10, v6
	v_lshlrev_b32_e32 v10, v10, v13
	v_cmp_ne_u32_e32 vcc, v10, v6
	v_cndmask_b32_e64 v6, 0, 1, vcc
	v_add_u32_e32 v9, 0xfffffc10, v9
	v_or_b32_e32 v6, v13, v6
	v_lshl_or_b32 v10, v9, 12, v4
	v_cmp_gt_i32_e32 vcc, 1, v9
	v_cndmask_b32_e32 v6, v10, v6, vcc
	v_and_b32_e32 v10, 7, v6
	v_lshrrev_b32_e32 v13, 16, v5
	v_cmp_lt_i32_e32 vcc, 5, v10
	v_cmp_eq_u32_e64 s[0:1], 3, v10
	v_mul_f16_sdwa v10, v74, v13 dst_sel:DWORD dst_unused:UNUSED_PAD src0_sel:WORD_1 src1_sel:DWORD
	v_fma_f16 v10, v74, v5, v10
	v_lshrrev_b32_e32 v6, 2, v6
	s_or_b64 vcc, s[0:1], vcc
	v_cvt_f32_f16_e32 v10, v10
	v_addc_co_u32_e32 v6, vcc, 0, v6, vcc
	v_cmp_gt_i32_e32 vcc, 31, v9
	v_cndmask_b32_e32 v6, v8, v6, vcc
	v_cmp_ne_u32_e32 vcc, 0, v4
	v_cndmask_b32_e64 v4, 0, 1, vcc
	v_cmp_eq_u32_e32 vcc, s10, v9
	v_cvt_f64_f32_e32 v[9:10], v10
	v_lshl_or_b32 v4, v4, 9, v8
	v_cndmask_b32_e32 v4, v6, v4, vcc
	v_lshrrev_b32_e32 v6, 16, v14
	v_mul_f64 v[9:10], v[9:10], s[2:3]
	v_and_or_b32 v4, v6, s11, v4
	v_and_b32_e32 v2, 0xffff, v2
	v_lshl_or_b32 v2, v4, 16, v2
	v_mov_b32_e32 v4, s4
	v_add_co_u32_e32 v11, vcc, s5, v11
	v_addc_co_u32_e32 v12, vcc, v12, v4, vcc
	global_store_dword v[11:12], v2, off
	v_and_or_b32 v2, v10, s6, v9
	v_cmp_ne_u32_e32 vcc, 0, v2
	v_cndmask_b32_e64 v2, 0, 1, vcc
	v_lshrrev_b32_e32 v4, 8, v10
	v_bfe_u32 v6, v10, 20, 11
	v_and_or_b32 v2, v4, s7, v2
	v_sub_u32_e32 v9, 0x3f1, v6
	v_or_b32_e32 v4, 0x1000, v2
	v_med3_i32 v9, v9, 0, 13
	v_lshrrev_b32_e32 v14, v9, v4
	v_lshlrev_b32_e32 v9, v9, v14
	v_mul_f16_sdwa v5, v74, v5 dst_sel:DWORD dst_unused:UNUSED_PAD src0_sel:WORD_1 src1_sel:DWORD
	v_cmp_ne_u32_e32 vcc, v9, v4
	v_fma_f16 v5, v74, v13, -v5
	v_cndmask_b32_e64 v4, 0, 1, vcc
	v_add_u32_e32 v9, 0xfffffc10, v6
	v_cvt_f32_f16_e32 v5, v5
	v_or_b32_e32 v4, v14, v4
	v_lshl_or_b32 v6, v9, 12, v2
	v_cmp_gt_i32_e32 vcc, 1, v9
	v_cndmask_b32_e32 v4, v6, v4, vcc
	v_and_b32_e32 v6, 7, v4
	v_cmp_lt_i32_e32 vcc, 5, v6
	v_cmp_eq_u32_e64 s[0:1], 3, v6
	v_lshrrev_b32_e32 v6, 2, v4
	v_cvt_f64_f32_e32 v[4:5], v5
	s_or_b64 vcc, s[0:1], vcc
	v_addc_co_u32_e32 v6, vcc, 0, v6, vcc
	v_cmp_gt_i32_e32 vcc, 31, v9
	v_cndmask_b32_e32 v13, v8, v6, vcc
	v_mul_f64 v[5:6], v[4:5], s[2:3]
	v_cmp_ne_u32_e32 vcc, 0, v2
	v_cndmask_b32_e64 v2, 0, 1, vcc
	v_lshl_or_b32 v2, v2, 9, v8
	v_cmp_eq_u32_e32 vcc, s10, v9
	v_cndmask_b32_e32 v2, v13, v2, vcc
	v_lshrrev_b32_e32 v4, 16, v10
	v_and_or_b32 v2, v4, s11, v2
	v_and_or_b32 v4, v6, s6, v5
	v_cmp_ne_u32_e32 vcc, 0, v4
	v_cndmask_b32_e64 v4, 0, 1, vcc
	v_lshrrev_b32_e32 v5, 8, v6
	v_and_or_b32 v9, v5, s7, v4
	v_bfe_u32 v5, v6, 20, 11
	v_sub_u32_e32 v10, 0x3f1, v5
	v_or_b32_e32 v4, 0x1000, v9
	v_med3_i32 v10, v10, 0, 13
	v_lshrrev_b32_e32 v13, v10, v4
	v_lshlrev_b32_e32 v10, v10, v13
	v_cmp_ne_u32_e32 vcc, v10, v4
	v_cndmask_b32_e64 v4, 0, 1, vcc
	v_add_u32_e32 v10, 0xfffffc10, v5
	v_or_b32_e32 v4, v13, v4
	v_lshl_or_b32 v5, v10, 12, v9
	v_cmp_gt_i32_e32 vcc, 1, v10
	v_cndmask_b32_e32 v4, v5, v4, vcc
	v_and_b32_e32 v5, 7, v4
	v_cmp_lt_i32_e32 vcc, 5, v5
	v_cmp_eq_u32_e64 s[0:1], 3, v5
	v_lshrrev_b32_e32 v4, 2, v4
	s_or_b64 vcc, s[0:1], vcc
	v_addc_co_u32_e32 v13, vcc, 0, v4, vcc
	ds_read2_b32 v[4:5], v76 offset0:6 offset1:249
	v_cmp_gt_i32_e32 vcc, 31, v10
	v_cndmask_b32_e32 v13, v8, v13, vcc
	v_cmp_ne_u32_e32 vcc, 0, v9
	v_cndmask_b32_e64 v9, 0, 1, vcc
	s_waitcnt lgkmcnt(0)
	v_lshrrev_b32_e32 v14, 16, v4
	v_mul_f16_sdwa v15, v72, v14 dst_sel:DWORD dst_unused:UNUSED_PAD src0_sel:WORD_1 src1_sel:DWORD
	v_fma_f16 v15, v72, v4, v15
	v_cvt_f32_f16_e32 v15, v15
	v_lshl_or_b32 v9, v9, 9, v8
	v_cmp_eq_u32_e32 vcc, s10, v10
	v_cndmask_b32_e32 v13, v13, v9, vcc
	v_cvt_f64_f32_e32 v[9:10], v15
	v_lshrrev_b32_e32 v6, 16, v6
	v_and_or_b32 v6, v6, s11, v13
	v_and_b32_e32 v2, 0xffff, v2
	v_mul_f64 v[9:10], v[9:10], s[2:3]
	v_lshl_or_b32 v2, v6, 16, v2
	v_mov_b32_e32 v6, s4
	v_add_co_u32_e32 v11, vcc, s5, v11
	v_addc_co_u32_e32 v12, vcc, v12, v6, vcc
	global_store_dword v[11:12], v2, off
	v_and_or_b32 v2, v10, s6, v9
	v_cmp_ne_u32_e32 vcc, 0, v2
	v_cndmask_b32_e64 v2, 0, 1, vcc
	v_lshrrev_b32_e32 v6, 8, v10
	v_bfe_u32 v9, v10, 20, 11
	v_and_or_b32 v2, v6, s7, v2
	v_sub_u32_e32 v13, 0x3f1, v9
	v_or_b32_e32 v6, 0x1000, v2
	v_med3_i32 v13, v13, 0, 13
	v_lshrrev_b32_e32 v15, v13, v6
	v_lshlrev_b32_e32 v13, v13, v15
	v_mul_f16_sdwa v4, v72, v4 dst_sel:DWORD dst_unused:UNUSED_PAD src0_sel:WORD_1 src1_sel:DWORD
	v_cmp_ne_u32_e32 vcc, v13, v6
	v_fma_f16 v4, v72, v14, -v4
	v_cndmask_b32_e64 v6, 0, 1, vcc
	v_add_u32_e32 v9, 0xfffffc10, v9
	v_cvt_f32_f16_e32 v4, v4
	v_or_b32_e32 v6, v15, v6
	v_lshl_or_b32 v13, v9, 12, v2
	v_cmp_gt_i32_e32 vcc, 1, v9
	v_cndmask_b32_e32 v6, v13, v6, vcc
	v_and_b32_e32 v13, 7, v6
	v_cmp_lt_i32_e32 vcc, 5, v13
	v_cmp_eq_u32_e64 s[0:1], 3, v13
	v_cvt_f64_f32_e32 v[13:14], v4
	v_lshrrev_b32_e32 v6, 2, v6
	s_or_b64 vcc, s[0:1], vcc
	v_addc_co_u32_e32 v4, vcc, 0, v6, vcc
	v_mul_f64 v[13:14], v[13:14], s[2:3]
	v_cmp_gt_i32_e32 vcc, 31, v9
	v_cndmask_b32_e32 v4, v8, v4, vcc
	v_cmp_ne_u32_e32 vcc, 0, v2
	v_cndmask_b32_e64 v2, 0, 1, vcc
	v_lshl_or_b32 v2, v2, 9, v8
	v_cmp_eq_u32_e32 vcc, s10, v9
	v_cndmask_b32_e32 v2, v4, v2, vcc
	v_lshrrev_b32_e32 v4, 16, v10
	v_and_or_b32 v2, v4, s11, v2
	v_and_or_b32 v4, v14, s6, v13
	v_cmp_ne_u32_e32 vcc, 0, v4
	v_cndmask_b32_e64 v4, 0, 1, vcc
	v_lshrrev_b32_e32 v6, 8, v14
	v_bfe_u32 v9, v14, 20, 11
	v_and_or_b32 v4, v6, s7, v4
	v_sub_u32_e32 v10, 0x3f1, v9
	v_or_b32_e32 v6, 0x1000, v4
	v_med3_i32 v10, v10, 0, 13
	v_lshrrev_b32_e32 v13, v10, v6
	v_lshlrev_b32_e32 v10, v10, v13
	v_cmp_ne_u32_e32 vcc, v10, v6
	v_cndmask_b32_e64 v6, 0, 1, vcc
	v_add_u32_e32 v9, 0xfffffc10, v9
	v_or_b32_e32 v6, v13, v6
	v_lshl_or_b32 v10, v9, 12, v4
	v_cmp_gt_i32_e32 vcc, 1, v9
	v_cndmask_b32_e32 v6, v10, v6, vcc
	v_and_b32_e32 v10, 7, v6
	v_lshrrev_b32_e32 v13, 16, v7
	v_cmp_lt_i32_e32 vcc, 5, v10
	v_cmp_eq_u32_e64 s[0:1], 3, v10
	v_mul_f16_sdwa v10, v71, v13 dst_sel:DWORD dst_unused:UNUSED_PAD src0_sel:WORD_1 src1_sel:DWORD
	v_fma_f16 v10, v71, v7, v10
	v_lshrrev_b32_e32 v6, 2, v6
	s_or_b64 vcc, s[0:1], vcc
	v_cvt_f32_f16_e32 v10, v10
	v_addc_co_u32_e32 v6, vcc, 0, v6, vcc
	v_cmp_gt_i32_e32 vcc, 31, v9
	v_cndmask_b32_e32 v6, v8, v6, vcc
	v_cmp_ne_u32_e32 vcc, 0, v4
	v_cndmask_b32_e64 v4, 0, 1, vcc
	v_cmp_eq_u32_e32 vcc, s10, v9
	v_cvt_f64_f32_e32 v[9:10], v10
	v_lshl_or_b32 v4, v4, 9, v8
	v_cndmask_b32_e32 v4, v6, v4, vcc
	v_lshrrev_b32_e32 v6, 16, v14
	v_mul_f64 v[9:10], v[9:10], s[2:3]
	v_and_or_b32 v4, v6, s11, v4
	v_and_b32_e32 v2, 0xffff, v2
	v_lshl_or_b32 v2, v4, 16, v2
	v_mov_b32_e32 v4, s4
	v_add_co_u32_e32 v11, vcc, s5, v11
	v_addc_co_u32_e32 v12, vcc, v12, v4, vcc
	global_store_dword v[11:12], v2, off
	v_and_or_b32 v2, v10, s6, v9
	v_cmp_ne_u32_e32 vcc, 0, v2
	v_cndmask_b32_e64 v2, 0, 1, vcc
	v_lshrrev_b32_e32 v4, 8, v10
	v_bfe_u32 v6, v10, 20, 11
	v_and_or_b32 v2, v4, s7, v2
	v_sub_u32_e32 v9, 0x3f1, v6
	v_or_b32_e32 v4, 0x1000, v2
	v_med3_i32 v9, v9, 0, 13
	v_lshrrev_b32_e32 v14, v9, v4
	v_lshlrev_b32_e32 v9, v9, v14
	v_mul_f16_sdwa v7, v71, v7 dst_sel:DWORD dst_unused:UNUSED_PAD src0_sel:WORD_1 src1_sel:DWORD
	v_cmp_ne_u32_e32 vcc, v9, v4
	v_fma_f16 v7, v71, v13, -v7
	v_cndmask_b32_e64 v4, 0, 1, vcc
	v_add_u32_e32 v9, 0xfffffc10, v6
	v_cvt_f32_f16_e32 v7, v7
	v_or_b32_e32 v4, v14, v4
	v_lshl_or_b32 v6, v9, 12, v2
	v_cmp_gt_i32_e32 vcc, 1, v9
	v_cndmask_b32_e32 v4, v6, v4, vcc
	v_and_b32_e32 v6, 7, v4
	v_cmp_lt_i32_e32 vcc, 5, v6
	v_cmp_eq_u32_e64 s[0:1], 3, v6
	v_cvt_f64_f32_e32 v[6:7], v7
	v_lshrrev_b32_e32 v4, 2, v4
	s_or_b64 vcc, s[0:1], vcc
	v_addc_co_u32_e32 v4, vcc, 0, v4, vcc
	v_mul_f64 v[6:7], v[6:7], s[2:3]
	v_cmp_gt_i32_e32 vcc, 31, v9
	v_cndmask_b32_e32 v4, v8, v4, vcc
	v_cmp_ne_u32_e32 vcc, 0, v2
	v_cndmask_b32_e64 v2, 0, 1, vcc
	v_lshl_or_b32 v2, v2, 9, v8
	v_cmp_eq_u32_e32 vcc, s10, v9
	v_cndmask_b32_e32 v2, v4, v2, vcc
	v_lshrrev_b32_e32 v4, 16, v10
	v_and_or_b32 v2, v4, s11, v2
	v_and_or_b32 v4, v7, s6, v6
	v_cmp_ne_u32_e32 vcc, 0, v4
	v_cndmask_b32_e64 v4, 0, 1, vcc
	v_lshrrev_b32_e32 v6, 8, v7
	v_bfe_u32 v9, v7, 20, 11
	v_and_or_b32 v4, v6, s7, v4
	v_sub_u32_e32 v10, 0x3f1, v9
	v_or_b32_e32 v6, 0x1000, v4
	v_med3_i32 v10, v10, 0, 13
	v_lshrrev_b32_e32 v13, v10, v6
	v_lshlrev_b32_e32 v10, v10, v13
	v_cmp_ne_u32_e32 vcc, v10, v6
	v_cndmask_b32_e64 v6, 0, 1, vcc
	v_add_u32_e32 v9, 0xfffffc10, v9
	v_or_b32_e32 v6, v13, v6
	v_lshl_or_b32 v10, v9, 12, v4
	v_cmp_gt_i32_e32 vcc, 1, v9
	v_cndmask_b32_e32 v6, v10, v6, vcc
	v_and_b32_e32 v10, 7, v6
	v_lshrrev_b32_e32 v13, 16, v0
	v_cmp_lt_i32_e32 vcc, 5, v10
	v_cmp_eq_u32_e64 s[0:1], 3, v10
	v_mul_f16_sdwa v10, v69, v13 dst_sel:DWORD dst_unused:UNUSED_PAD src0_sel:WORD_1 src1_sel:DWORD
	v_fma_f16 v10, v69, v0, v10
	v_lshrrev_b32_e32 v6, 2, v6
	s_or_b64 vcc, s[0:1], vcc
	v_cvt_f32_f16_e32 v10, v10
	v_addc_co_u32_e32 v6, vcc, 0, v6, vcc
	v_cmp_gt_i32_e32 vcc, 31, v9
	v_cndmask_b32_e32 v6, v8, v6, vcc
	v_cmp_ne_u32_e32 vcc, 0, v4
	v_cndmask_b32_e64 v4, 0, 1, vcc
	v_cmp_eq_u32_e32 vcc, s10, v9
	v_cvt_f64_f32_e32 v[9:10], v10
	v_lshl_or_b32 v4, v4, 9, v8
	v_cndmask_b32_e32 v4, v6, v4, vcc
	v_lshrrev_b32_e32 v6, 16, v7
	v_and_or_b32 v4, v6, s11, v4
	v_mul_f64 v[6:7], v[9:10], s[2:3]
	v_and_b32_e32 v2, 0xffff, v2
	v_lshl_or_b32 v2, v4, 16, v2
	v_mov_b32_e32 v4, s4
	v_add_co_u32_e32 v9, vcc, s5, v11
	v_addc_co_u32_e32 v10, vcc, v12, v4, vcc
	global_store_dword v[9:10], v2, off
	v_and_or_b32 v2, v7, s6, v6
	v_cmp_ne_u32_e32 vcc, 0, v2
	v_cndmask_b32_e64 v2, 0, 1, vcc
	v_lshrrev_b32_e32 v4, 8, v7
	v_bfe_u32 v6, v7, 20, 11
	v_and_or_b32 v2, v4, s7, v2
	v_sub_u32_e32 v11, 0x3f1, v6
	v_or_b32_e32 v4, 0x1000, v2
	v_med3_i32 v11, v11, 0, 13
	v_lshrrev_b32_e32 v12, v11, v4
	v_lshlrev_b32_e32 v11, v11, v12
	v_mul_f16_sdwa v0, v69, v0 dst_sel:DWORD dst_unused:UNUSED_PAD src0_sel:WORD_1 src1_sel:DWORD
	v_cmp_ne_u32_e32 vcc, v11, v4
	v_fma_f16 v0, v69, v13, -v0
	v_cndmask_b32_e64 v4, 0, 1, vcc
	v_add_u32_e32 v6, 0xfffffc10, v6
	v_cvt_f32_f16_e32 v0, v0
	v_or_b32_e32 v4, v12, v4
	v_lshl_or_b32 v11, v6, 12, v2
	v_cmp_gt_i32_e32 vcc, 1, v6
	v_cndmask_b32_e32 v4, v11, v4, vcc
	v_and_b32_e32 v11, 7, v4
	v_cmp_lt_i32_e32 vcc, 5, v11
	v_cmp_eq_u32_e64 s[0:1], 3, v11
	v_cvt_f64_f32_e32 v[11:12], v0
	v_lshrrev_b32_e32 v4, 2, v4
	s_or_b64 vcc, s[0:1], vcc
	v_addc_co_u32_e32 v0, vcc, 0, v4, vcc
	v_mul_f64 v[11:12], v[11:12], s[2:3]
	v_cmp_gt_i32_e32 vcc, 31, v6
	v_cndmask_b32_e32 v0, v8, v0, vcc
	v_cmp_ne_u32_e32 vcc, 0, v2
	v_cndmask_b32_e64 v2, 0, 1, vcc
	v_lshl_or_b32 v2, v2, 9, v8
	v_cmp_eq_u32_e32 vcc, s10, v6
	v_cndmask_b32_e32 v0, v0, v2, vcc
	v_lshrrev_b32_e32 v2, 16, v7
	v_and_or_b32 v0, v2, s11, v0
	v_and_or_b32 v2, v12, s6, v11
	v_cmp_ne_u32_e32 vcc, 0, v2
	v_cndmask_b32_e64 v2, 0, 1, vcc
	v_lshrrev_b32_e32 v4, 8, v12
	v_bfe_u32 v6, v12, 20, 11
	v_and_or_b32 v2, v4, s7, v2
	v_sub_u32_e32 v7, 0x3f1, v6
	v_or_b32_e32 v4, 0x1000, v2
	v_med3_i32 v7, v7, 0, 13
	v_lshrrev_b32_e32 v11, v7, v4
	v_lshlrev_b32_e32 v7, v7, v11
	v_cmp_ne_u32_e32 vcc, v7, v4
	v_cndmask_b32_e64 v4, 0, 1, vcc
	v_or_b32_e32 v4, v11, v4
	v_add_u32_e32 v11, 0xfffffc10, v6
	v_lshl_or_b32 v6, v11, 12, v2
	v_cmp_gt_i32_e32 vcc, 1, v11
	v_cndmask_b32_e32 v4, v6, v4, vcc
	v_and_b32_e32 v6, 7, v4
	v_lshrrev_b32_e32 v13, 16, v3
	v_cmp_lt_i32_e32 vcc, 5, v6
	v_cmp_eq_u32_e64 s[0:1], 3, v6
	v_mul_f16_sdwa v6, v70, v13 dst_sel:DWORD dst_unused:UNUSED_PAD src0_sel:WORD_1 src1_sel:DWORD
	v_fma_f16 v6, v70, v3, v6
	v_cvt_f32_f16_e32 v6, v6
	v_lshrrev_b32_e32 v4, 2, v4
	s_or_b64 vcc, s[0:1], vcc
	v_addc_co_u32_e32 v4, vcc, 0, v4, vcc
	v_cvt_f64_f32_e32 v[6:7], v6
	v_cmp_gt_i32_e32 vcc, 31, v11
	v_cndmask_b32_e32 v4, v8, v4, vcc
	v_cmp_ne_u32_e32 vcc, 0, v2
	v_mul_f64 v[6:7], v[6:7], s[2:3]
	v_cndmask_b32_e64 v2, 0, 1, vcc
	v_mad_u64_u32 v[9:10], s[0:1], s8, v67, v[9:10]
	v_lshl_or_b32 v2, v2, 9, v8
	v_cmp_eq_u32_e32 vcc, s10, v11
	v_cndmask_b32_e32 v2, v4, v2, vcc
	v_lshrrev_b32_e32 v4, 16, v12
	v_and_or_b32 v2, v4, s11, v2
	v_and_b32_e32 v0, 0xffff, v0
	v_lshl_or_b32 v0, v2, 16, v0
	v_add_u32_e32 v10, s9, v10
	global_store_dword v[9:10], v0, off
	v_and_or_b32 v0, v7, s6, v6
	v_cmp_ne_u32_e32 vcc, 0, v0
	v_cndmask_b32_e64 v0, 0, 1, vcc
	v_lshrrev_b32_e32 v2, 8, v7
	v_bfe_u32 v4, v7, 20, 11
	v_and_or_b32 v0, v2, s7, v0
	v_sub_u32_e32 v6, 0x3f1, v4
	v_or_b32_e32 v2, 0x1000, v0
	v_med3_i32 v6, v6, 0, 13
	v_lshrrev_b32_e32 v11, v6, v2
	v_lshlrev_b32_e32 v6, v6, v11
	v_mul_f16_sdwa v3, v70, v3 dst_sel:DWORD dst_unused:UNUSED_PAD src0_sel:WORD_1 src1_sel:DWORD
	v_cmp_ne_u32_e32 vcc, v6, v2
	v_fma_f16 v3, v70, v13, -v3
	v_cndmask_b32_e64 v2, 0, 1, vcc
	v_add_u32_e32 v4, 0xfffffc10, v4
	v_cvt_f32_f16_e32 v3, v3
	v_or_b32_e32 v2, v11, v2
	v_lshl_or_b32 v6, v4, 12, v0
	v_cmp_gt_i32_e32 vcc, 1, v4
	v_cndmask_b32_e32 v2, v6, v2, vcc
	v_and_b32_e32 v6, 7, v2
	v_cmp_lt_i32_e32 vcc, 5, v6
	v_cmp_eq_u32_e64 s[0:1], 3, v6
	v_lshrrev_b32_e32 v6, 2, v2
	v_cvt_f64_f32_e32 v[2:3], v3
	s_or_b64 vcc, s[0:1], vcc
	v_addc_co_u32_e32 v6, vcc, 0, v6, vcc
	v_mul_f64 v[2:3], v[2:3], s[2:3]
	v_cmp_gt_i32_e32 vcc, 31, v4
	v_cndmask_b32_e32 v6, v8, v6, vcc
	v_cmp_ne_u32_e32 vcc, 0, v0
	v_cndmask_b32_e64 v0, 0, 1, vcc
	v_lshl_or_b32 v0, v0, 9, v8
	v_cmp_eq_u32_e32 vcc, s10, v4
	v_cndmask_b32_e32 v0, v6, v0, vcc
	v_and_or_b32 v2, v3, s6, v2
	v_lshrrev_b32_e32 v4, 16, v7
	v_cmp_ne_u32_e32 vcc, 0, v2
	v_and_or_b32 v0, v4, s11, v0
	v_cndmask_b32_e64 v2, 0, 1, vcc
	v_lshrrev_b32_e32 v4, 8, v3
	v_bfe_u32 v6, v3, 20, 11
	v_and_or_b32 v2, v4, s7, v2
	v_sub_u32_e32 v7, 0x3f1, v6
	v_or_b32_e32 v4, 0x1000, v2
	v_med3_i32 v7, v7, 0, 13
	v_lshrrev_b32_e32 v11, v7, v4
	v_lshlrev_b32_e32 v7, v7, v11
	v_cmp_ne_u32_e32 vcc, v7, v4
	v_cndmask_b32_e64 v4, 0, 1, vcc
	v_add_u32_e32 v6, 0xfffffc10, v6
	v_or_b32_e32 v4, v11, v4
	v_lshl_or_b32 v7, v6, 12, v2
	v_cmp_gt_i32_e32 vcc, 1, v6
	v_cndmask_b32_e32 v4, v7, v4, vcc
	v_and_b32_e32 v7, 7, v4
	v_lshrrev_b32_e32 v11, 16, v1
	v_cmp_lt_i32_e32 vcc, 5, v7
	v_cmp_eq_u32_e64 s[0:1], 3, v7
	v_mul_f16_sdwa v7, v68, v11 dst_sel:DWORD dst_unused:UNUSED_PAD src0_sel:WORD_1 src1_sel:DWORD
	v_fma_f16 v7, v68, v1, v7
	v_lshrrev_b32_e32 v4, 2, v4
	s_or_b64 vcc, s[0:1], vcc
	v_cvt_f32_f16_e32 v7, v7
	v_addc_co_u32_e32 v4, vcc, 0, v4, vcc
	v_cmp_gt_i32_e32 vcc, 31, v6
	v_cndmask_b32_e32 v4, v8, v4, vcc
	v_cmp_ne_u32_e32 vcc, 0, v2
	v_cndmask_b32_e64 v2, 0, 1, vcc
	v_cmp_eq_u32_e32 vcc, s10, v6
	v_cvt_f64_f32_e32 v[6:7], v7
	v_lshl_or_b32 v2, v2, 9, v8
	v_cndmask_b32_e32 v2, v4, v2, vcc
	v_lshrrev_b32_e32 v3, 16, v3
	v_and_or_b32 v4, v3, s11, v2
	v_mul_f64 v[2:3], v[6:7], s[2:3]
	v_and_b32_e32 v0, 0xffff, v0
	v_lshl_or_b32 v0, v4, 16, v0
	v_mov_b32_e32 v4, s4
	v_add_co_u32_e32 v6, vcc, s5, v9
	v_addc_co_u32_e32 v7, vcc, v10, v4, vcc
	global_store_dword v[6:7], v0, off
	v_and_or_b32 v0, v3, s6, v2
	v_cmp_ne_u32_e32 vcc, 0, v0
	v_cndmask_b32_e64 v0, 0, 1, vcc
	v_lshrrev_b32_e32 v2, 8, v3
	v_bfe_u32 v4, v3, 20, 11
	v_and_or_b32 v2, v2, s7, v0
	v_sub_u32_e32 v9, 0x3f1, v4
	v_or_b32_e32 v0, 0x1000, v2
	v_med3_i32 v9, v9, 0, 13
	v_lshrrev_b32_e32 v10, v9, v0
	v_lshlrev_b32_e32 v9, v9, v10
	v_mul_f16_sdwa v1, v68, v1 dst_sel:DWORD dst_unused:UNUSED_PAD src0_sel:WORD_1 src1_sel:DWORD
	v_cmp_ne_u32_e32 vcc, v9, v0
	v_fma_f16 v1, v68, v11, -v1
	v_cndmask_b32_e64 v0, 0, 1, vcc
	v_add_u32_e32 v4, 0xfffffc10, v4
	v_cvt_f32_f16_e32 v1, v1
	v_or_b32_e32 v0, v10, v0
	v_lshl_or_b32 v9, v4, 12, v2
	v_cmp_gt_i32_e32 vcc, 1, v4
	v_cndmask_b32_e32 v0, v9, v0, vcc
	v_and_b32_e32 v9, 7, v0
	v_cmp_lt_i32_e32 vcc, 5, v9
	v_cmp_eq_u32_e64 s[0:1], 3, v9
	v_lshrrev_b32_e32 v9, 2, v0
	v_cvt_f64_f32_e32 v[0:1], v1
	s_or_b64 vcc, s[0:1], vcc
	v_addc_co_u32_e32 v9, vcc, 0, v9, vcc
	v_mul_f64 v[0:1], v[0:1], s[2:3]
	v_cmp_gt_i32_e32 vcc, 31, v4
	v_cndmask_b32_e32 v9, v8, v9, vcc
	v_cmp_ne_u32_e32 vcc, 0, v2
	v_cndmask_b32_e64 v2, 0, 1, vcc
	v_lshl_or_b32 v2, v2, 9, v8
	v_cmp_eq_u32_e32 vcc, s10, v4
	v_cndmask_b32_e32 v2, v9, v2, vcc
	v_and_or_b32 v0, v1, s6, v0
	v_lshrrev_b32_e32 v3, 16, v3
	v_cmp_ne_u32_e32 vcc, 0, v0
	v_and_or_b32 v4, v3, s11, v2
	v_cndmask_b32_e64 v0, 0, 1, vcc
	v_lshrrev_b32_e32 v2, 8, v1
	v_bfe_u32 v3, v1, 20, 11
	v_and_or_b32 v0, v2, s7, v0
	v_sub_u32_e32 v9, 0x3f1, v3
	v_or_b32_e32 v2, 0x1000, v0
	v_med3_i32 v9, v9, 0, 13
	v_lshrrev_b32_e32 v10, v9, v2
	v_lshlrev_b32_e32 v9, v9, v10
	v_cmp_ne_u32_e32 vcc, v9, v2
	v_cndmask_b32_e64 v2, 0, 1, vcc
	v_add_u32_e32 v3, 0xfffffc10, v3
	v_or_b32_e32 v2, v10, v2
	v_lshl_or_b32 v9, v3, 12, v0
	v_cmp_gt_i32_e32 vcc, 1, v3
	v_cndmask_b32_e32 v2, v9, v2, vcc
	v_and_b32_e32 v9, 7, v2
	v_cmp_lt_i32_e32 vcc, 5, v9
	v_cmp_eq_u32_e64 s[0:1], 3, v9
	v_lshrrev_b32_e32 v9, 16, v5
	v_lshrrev_b32_e32 v2, 2, v2
	s_or_b64 vcc, s[0:1], vcc
	v_mul_f16_sdwa v10, v66, v9 dst_sel:DWORD dst_unused:UNUSED_PAD src0_sel:WORD_1 src1_sel:DWORD
	v_addc_co_u32_e32 v2, vcc, 0, v2, vcc
	v_fma_f16 v10, v66, v5, v10
	v_cmp_gt_i32_e32 vcc, 31, v3
	v_cvt_f32_f16_e32 v10, v10
	v_cndmask_b32_e32 v2, v8, v2, vcc
	v_cmp_ne_u32_e32 vcc, 0, v0
	v_cndmask_b32_e64 v0, 0, 1, vcc
	v_lshl_or_b32 v0, v0, 9, v8
	v_cmp_eq_u32_e32 vcc, s10, v3
	v_cndmask_b32_e32 v0, v2, v0, vcc
	v_cvt_f64_f32_e32 v[2:3], v10
	v_lshrrev_b32_e32 v1, 16, v1
	v_and_or_b32 v10, v1, s11, v0
	v_and_b32_e32 v4, 0xffff, v4
	v_mul_f64 v[0:1], v[2:3], s[2:3]
	v_mov_b32_e32 v3, s4
	v_add_co_u32_e32 v2, vcc, s5, v6
	v_addc_co_u32_e32 v3, vcc, v7, v3, vcc
	v_lshl_or_b32 v4, v10, 16, v4
	global_store_dword v[2:3], v4, off
	v_and_or_b32 v0, v1, s6, v0
	v_cmp_ne_u32_e32 vcc, 0, v0
	v_cndmask_b32_e64 v0, 0, 1, vcc
	v_lshrrev_b32_e32 v4, 8, v1
	v_bfe_u32 v6, v1, 20, 11
	v_and_or_b32 v0, v4, s7, v0
	v_sub_u32_e32 v7, 0x3f1, v6
	v_or_b32_e32 v4, 0x1000, v0
	v_med3_i32 v7, v7, 0, 13
	v_lshrrev_b32_e32 v10, v7, v4
	v_lshlrev_b32_e32 v7, v7, v10
	v_mul_f16_sdwa v5, v66, v5 dst_sel:DWORD dst_unused:UNUSED_PAD src0_sel:WORD_1 src1_sel:DWORD
	v_cmp_ne_u32_e32 vcc, v7, v4
	v_fma_f16 v5, v66, v9, -v5
	v_cndmask_b32_e64 v4, 0, 1, vcc
	v_add_u32_e32 v6, 0xfffffc10, v6
	v_cvt_f32_f16_e32 v5, v5
	v_or_b32_e32 v4, v10, v4
	v_lshl_or_b32 v7, v6, 12, v0
	v_cmp_gt_i32_e32 vcc, 1, v6
	v_cndmask_b32_e32 v4, v7, v4, vcc
	v_and_b32_e32 v7, 7, v4
	v_cmp_lt_i32_e32 vcc, 5, v7
	v_cmp_eq_u32_e64 s[0:1], 3, v7
	v_lshrrev_b32_e32 v7, 2, v4
	v_cvt_f64_f32_e32 v[4:5], v5
	s_or_b64 vcc, s[0:1], vcc
	v_addc_co_u32_e32 v7, vcc, 0, v7, vcc
	v_mul_f64 v[4:5], v[4:5], s[2:3]
	v_cmp_gt_i32_e32 vcc, 31, v6
	v_cndmask_b32_e32 v7, v8, v7, vcc
	v_cmp_ne_u32_e32 vcc, 0, v0
	v_cndmask_b32_e64 v0, 0, 1, vcc
	v_lshl_or_b32 v0, v0, 9, v8
	v_cmp_eq_u32_e32 vcc, s10, v6
	v_cndmask_b32_e32 v0, v7, v0, vcc
	v_lshrrev_b32_e32 v1, 16, v1
	v_and_or_b32 v6, v1, s11, v0
	v_and_or_b32 v0, v5, s6, v4
	v_cmp_ne_u32_e32 vcc, 0, v0
	v_cndmask_b32_e64 v0, 0, 1, vcc
	v_lshrrev_b32_e32 v1, 8, v5
	v_bfe_u32 v4, v5, 20, 11
	v_and_or_b32 v0, v1, s7, v0
	v_sub_u32_e32 v7, 0x3f1, v4
	v_or_b32_e32 v1, 0x1000, v0
	v_med3_i32 v7, v7, 0, 13
	v_lshrrev_b32_e32 v9, v7, v1
	v_lshlrev_b32_e32 v7, v7, v9
	v_cmp_ne_u32_e32 vcc, v7, v1
	v_cndmask_b32_e64 v1, 0, 1, vcc
	v_add_u32_e32 v4, 0xfffffc10, v4
	v_or_b32_e32 v1, v9, v1
	v_lshl_or_b32 v7, v4, 12, v0
	v_cmp_gt_i32_e32 vcc, 1, v4
	v_cndmask_b32_e32 v1, v7, v1, vcc
	v_and_b32_e32 v7, 7, v1
	v_cmp_lt_i32_e32 vcc, 5, v7
	v_cmp_eq_u32_e64 s[0:1], 3, v7
	ds_read_b32 v7, v64 offset:13608
	v_lshrrev_b32_e32 v1, 2, v1
	s_or_b64 vcc, s[0:1], vcc
	v_addc_co_u32_e32 v1, vcc, 0, v1, vcc
	s_waitcnt lgkmcnt(0)
	v_lshrrev_b32_e32 v9, 16, v7
	v_mul_f16_sdwa v10, v65, v9 dst_sel:DWORD dst_unused:UNUSED_PAD src0_sel:WORD_1 src1_sel:DWORD
	v_fma_f16 v10, v65, v7, v10
	v_cmp_gt_i32_e32 vcc, 31, v4
	v_cvt_f32_f16_e32 v10, v10
	v_cndmask_b32_e32 v1, v8, v1, vcc
	v_cmp_ne_u32_e32 vcc, 0, v0
	v_cndmask_b32_e64 v0, 0, 1, vcc
	v_lshl_or_b32 v0, v0, 9, v8
	v_cmp_eq_u32_e32 vcc, s10, v4
	v_cndmask_b32_e32 v4, v1, v0, vcc
	v_cvt_f64_f32_e32 v[0:1], v10
	v_lshrrev_b32_e32 v5, 16, v5
	v_and_or_b32 v4, v5, s11, v4
	v_and_b32_e32 v5, 0xffff, v6
	v_mul_f64 v[0:1], v[0:1], s[2:3]
	v_lshl_or_b32 v4, v4, 16, v5
	v_mov_b32_e32 v5, s4
	v_add_co_u32_e32 v2, vcc, s5, v2
	v_addc_co_u32_e32 v3, vcc, v3, v5, vcc
	global_store_dword v[2:3], v4, off
	v_and_or_b32 v0, v1, s6, v0
	v_cmp_ne_u32_e32 vcc, 0, v0
	v_cndmask_b32_e64 v0, 0, 1, vcc
	v_lshrrev_b32_e32 v4, 8, v1
	v_bfe_u32 v5, v1, 20, 11
	v_and_or_b32 v0, v4, s7, v0
	v_sub_u32_e32 v6, 0x3f1, v5
	v_or_b32_e32 v4, 0x1000, v0
	v_med3_i32 v6, v6, 0, 13
	v_lshrrev_b32_e32 v10, v6, v4
	v_lshlrev_b32_e32 v6, v6, v10
	v_mul_f16_sdwa v7, v65, v7 dst_sel:DWORD dst_unused:UNUSED_PAD src0_sel:WORD_1 src1_sel:DWORD
	v_cmp_ne_u32_e32 vcc, v6, v4
	v_fma_f16 v7, v65, v9, -v7
	v_cndmask_b32_e64 v4, 0, 1, vcc
	v_add_u32_e32 v6, 0xfffffc10, v5
	v_cvt_f32_f16_e32 v7, v7
	v_or_b32_e32 v4, v10, v4
	v_lshl_or_b32 v5, v6, 12, v0
	v_cmp_gt_i32_e32 vcc, 1, v6
	v_cndmask_b32_e32 v4, v5, v4, vcc
	v_and_b32_e32 v5, 7, v4
	v_cmp_lt_i32_e32 vcc, 5, v5
	v_cmp_eq_u32_e64 s[0:1], 3, v5
	v_lshrrev_b32_e32 v9, 2, v4
	v_cvt_f64_f32_e32 v[4:5], v7
	s_or_b64 vcc, s[0:1], vcc
	v_addc_co_u32_e32 v7, vcc, 0, v9, vcc
	v_mul_f64 v[4:5], v[4:5], s[2:3]
	v_cmp_gt_i32_e32 vcc, 31, v6
	v_cndmask_b32_e32 v7, v8, v7, vcc
	v_cmp_ne_u32_e32 vcc, 0, v0
	v_cndmask_b32_e64 v0, 0, 1, vcc
	v_lshl_or_b32 v0, v0, 9, v8
	v_cmp_eq_u32_e32 vcc, s10, v6
	v_cndmask_b32_e32 v0, v7, v0, vcc
	v_lshrrev_b32_e32 v1, 16, v1
	v_and_or_b32 v0, v1, s11, v0
	v_and_or_b32 v1, v5, s6, v4
	v_cmp_ne_u32_e32 vcc, 0, v1
	v_cndmask_b32_e64 v1, 0, 1, vcc
	v_lshrrev_b32_e32 v4, 8, v5
	v_bfe_u32 v6, v5, 20, 11
	v_and_or_b32 v1, v4, s7, v1
	v_sub_u32_e32 v7, 0x3f1, v6
	v_or_b32_e32 v4, 0x1000, v1
	v_med3_i32 v7, v7, 0, 13
	v_lshrrev_b32_e32 v9, v7, v4
	v_lshlrev_b32_e32 v7, v7, v9
	v_cmp_ne_u32_e32 vcc, v7, v4
	v_cndmask_b32_e64 v4, 0, 1, vcc
	v_add_u32_e32 v6, 0xfffffc10, v6
	v_or_b32_e32 v4, v9, v4
	v_lshl_or_b32 v7, v6, 12, v1
	v_cmp_gt_i32_e32 vcc, 1, v6
	v_cndmask_b32_e32 v4, v7, v4, vcc
	v_and_b32_e32 v7, 7, v4
	v_cmp_lt_i32_e32 vcc, 5, v7
	v_cmp_eq_u32_e64 s[0:1], 3, v7
	v_lshrrev_b32_e32 v4, 2, v4
	s_or_b64 vcc, s[0:1], vcc
	v_addc_co_u32_e32 v4, vcc, 0, v4, vcc
	v_cmp_gt_i32_e32 vcc, 31, v6
	v_cndmask_b32_e32 v4, v8, v4, vcc
	v_cmp_ne_u32_e32 vcc, 0, v1
	v_cndmask_b32_e64 v1, 0, 1, vcc
	v_lshl_or_b32 v1, v1, 9, v8
	v_cmp_eq_u32_e32 vcc, s10, v6
	v_cndmask_b32_e32 v1, v4, v1, vcc
	v_lshrrev_b32_e32 v4, 16, v5
	v_and_or_b32 v1, v4, s11, v1
	v_and_b32_e32 v0, 0xffff, v0
	v_lshl_or_b32 v4, v1, 16, v0
	v_mov_b32_e32 v1, s4
	v_add_co_u32_e32 v0, vcc, s5, v2
	v_addc_co_u32_e32 v1, vcc, v3, v1, vcc
	global_store_dword v[0:1], v4, off
.LBB0_2:
	s_endpgm
	.section	.rodata,"a",@progbits
	.p2align	6, 0x0
	.amdhsa_kernel bluestein_single_fwd_len3645_dim1_half_op_CI_CI
		.amdhsa_group_segment_fixed_size 14580
		.amdhsa_private_segment_fixed_size 0
		.amdhsa_kernarg_size 104
		.amdhsa_user_sgpr_count 6
		.amdhsa_user_sgpr_private_segment_buffer 1
		.amdhsa_user_sgpr_dispatch_ptr 0
		.amdhsa_user_sgpr_queue_ptr 0
		.amdhsa_user_sgpr_kernarg_segment_ptr 1
		.amdhsa_user_sgpr_dispatch_id 0
		.amdhsa_user_sgpr_flat_scratch_init 0
		.amdhsa_user_sgpr_private_segment_size 0
		.amdhsa_uses_dynamic_stack 0
		.amdhsa_system_sgpr_private_segment_wavefront_offset 0
		.amdhsa_system_sgpr_workgroup_id_x 1
		.amdhsa_system_sgpr_workgroup_id_y 0
		.amdhsa_system_sgpr_workgroup_id_z 0
		.amdhsa_system_sgpr_workgroup_info 0
		.amdhsa_system_vgpr_workitem_id 0
		.amdhsa_next_free_vgpr 147
		.amdhsa_next_free_sgpr 20
		.amdhsa_reserve_vcc 1
		.amdhsa_reserve_flat_scratch 0
		.amdhsa_float_round_mode_32 0
		.amdhsa_float_round_mode_16_64 0
		.amdhsa_float_denorm_mode_32 3
		.amdhsa_float_denorm_mode_16_64 3
		.amdhsa_dx10_clamp 1
		.amdhsa_ieee_mode 1
		.amdhsa_fp16_overflow 0
		.amdhsa_exception_fp_ieee_invalid_op 0
		.amdhsa_exception_fp_denorm_src 0
		.amdhsa_exception_fp_ieee_div_zero 0
		.amdhsa_exception_fp_ieee_overflow 0
		.amdhsa_exception_fp_ieee_underflow 0
		.amdhsa_exception_fp_ieee_inexact 0
		.amdhsa_exception_int_div_zero 0
	.end_amdhsa_kernel
	.text
.Lfunc_end0:
	.size	bluestein_single_fwd_len3645_dim1_half_op_CI_CI, .Lfunc_end0-bluestein_single_fwd_len3645_dim1_half_op_CI_CI
                                        ; -- End function
	.section	.AMDGPU.csdata,"",@progbits
; Kernel info:
; codeLenInByte = 26932
; NumSgprs: 24
; NumVgprs: 147
; ScratchSize: 0
; MemoryBound: 0
; FloatMode: 240
; IeeeMode: 1
; LDSByteSize: 14580 bytes/workgroup (compile time only)
; SGPRBlocks: 2
; VGPRBlocks: 36
; NumSGPRsForWavesPerEU: 24
; NumVGPRsForWavesPerEU: 147
; Occupancy: 1
; WaveLimiterHint : 1
; COMPUTE_PGM_RSRC2:SCRATCH_EN: 0
; COMPUTE_PGM_RSRC2:USER_SGPR: 6
; COMPUTE_PGM_RSRC2:TRAP_HANDLER: 0
; COMPUTE_PGM_RSRC2:TGID_X_EN: 1
; COMPUTE_PGM_RSRC2:TGID_Y_EN: 0
; COMPUTE_PGM_RSRC2:TGID_Z_EN: 0
; COMPUTE_PGM_RSRC2:TIDIG_COMP_CNT: 0
	.type	__hip_cuid_4e57f24396e89d1c,@object ; @__hip_cuid_4e57f24396e89d1c
	.section	.bss,"aw",@nobits
	.globl	__hip_cuid_4e57f24396e89d1c
__hip_cuid_4e57f24396e89d1c:
	.byte	0                               ; 0x0
	.size	__hip_cuid_4e57f24396e89d1c, 1

	.ident	"AMD clang version 19.0.0git (https://github.com/RadeonOpenCompute/llvm-project roc-6.4.0 25133 c7fe45cf4b819c5991fe208aaa96edf142730f1d)"
	.section	".note.GNU-stack","",@progbits
	.addrsig
	.addrsig_sym __hip_cuid_4e57f24396e89d1c
	.amdgpu_metadata
---
amdhsa.kernels:
  - .args:
      - .actual_access:  read_only
        .address_space:  global
        .offset:         0
        .size:           8
        .value_kind:     global_buffer
      - .actual_access:  read_only
        .address_space:  global
        .offset:         8
        .size:           8
        .value_kind:     global_buffer
      - .actual_access:  read_only
        .address_space:  global
        .offset:         16
        .size:           8
        .value_kind:     global_buffer
      - .actual_access:  read_only
        .address_space:  global
        .offset:         24
        .size:           8
        .value_kind:     global_buffer
      - .actual_access:  read_only
        .address_space:  global
        .offset:         32
        .size:           8
        .value_kind:     global_buffer
      - .offset:         40
        .size:           8
        .value_kind:     by_value
      - .address_space:  global
        .offset:         48
        .size:           8
        .value_kind:     global_buffer
      - .address_space:  global
        .offset:         56
        .size:           8
        .value_kind:     global_buffer
      - .address_space:  global
        .offset:         64
        .size:           8
        .value_kind:     global_buffer
      - .address_space:  global
        .offset:         72
        .size:           8
        .value_kind:     global_buffer
      - .offset:         80
        .size:           4
        .value_kind:     by_value
      - .address_space:  global
        .offset:         88
        .size:           8
        .value_kind:     global_buffer
      - .address_space:  global
        .offset:         96
        .size:           8
        .value_kind:     global_buffer
    .group_segment_fixed_size: 14580
    .kernarg_segment_align: 8
    .kernarg_segment_size: 104
    .language:       OpenCL C
    .language_version:
      - 2
      - 0
    .max_flat_workgroup_size: 243
    .name:           bluestein_single_fwd_len3645_dim1_half_op_CI_CI
    .private_segment_fixed_size: 0
    .sgpr_count:     24
    .sgpr_spill_count: 0
    .symbol:         bluestein_single_fwd_len3645_dim1_half_op_CI_CI.kd
    .uniform_work_group_size: 1
    .uses_dynamic_stack: false
    .vgpr_count:     147
    .vgpr_spill_count: 0
    .wavefront_size: 64
amdhsa.target:   amdgcn-amd-amdhsa--gfx906
amdhsa.version:
  - 1
  - 2
...

	.end_amdgpu_metadata
